;; amdgpu-corpus repo=ROCm/rocFFT kind=compiled arch=gfx906 opt=O3
	.text
	.amdgcn_target "amdgcn-amd-amdhsa--gfx906"
	.amdhsa_code_object_version 6
	.protected	bluestein_single_back_len714_dim1_half_op_CI_CI ; -- Begin function bluestein_single_back_len714_dim1_half_op_CI_CI
	.globl	bluestein_single_back_len714_dim1_half_op_CI_CI
	.p2align	8
	.type	bluestein_single_back_len714_dim1_half_op_CI_CI,@function
bluestein_single_back_len714_dim1_half_op_CI_CI: ; @bluestein_single_back_len714_dim1_half_op_CI_CI
; %bb.0:
	s_load_dwordx4 s[12:15], s[4:5], 0x28
	s_mov_b64 s[42:43], s[2:3]
	v_mul_u32_u24_e32 v1, 0x506, v0
	s_mov_b64 s[40:41], s[0:1]
	v_add_u32_sdwa v22, s6, v1 dst_sel:DWORD dst_unused:UNUSED_PAD src0_sel:DWORD src1_sel:WORD_1
	v_mov_b32_e32 v23, 0
	s_add_u32 s40, s40, s7
	s_waitcnt lgkmcnt(0)
	v_cmp_gt_u64_e32 vcc, s[12:13], v[22:23]
	s_addc_u32 s41, s41, 0
	s_and_saveexec_b64 s[0:1], vcc
	s_cbranch_execz .LBB0_23
; %bb.1:
	s_load_dwordx4 s[0:3], s[4:5], 0x18
	s_load_dwordx2 s[12:13], s[4:5], 0x0
	v_mov_b32_e32 v2, 51
	v_mul_lo_u16_sdwa v1, v1, v2 dst_sel:DWORD dst_unused:UNUSED_PAD src0_sel:WORD_1 src1_sel:DWORD
	v_sub_u16_e32 v54, v0, v1
	s_waitcnt lgkmcnt(0)
	s_load_dwordx4 s[8:11], s[0:1], 0x0
	v_lshlrev_b32_e32 v43, 2, v54
	global_load_dword v56, v43, s[12:13]
	global_load_dword v55, v43, s[12:13] offset:952
	v_mov_b32_e32 v15, s13
	s_waitcnt lgkmcnt(0)
	v_mad_u64_u32 v[0:1], s[0:1], s10, v22, 0
	v_mad_u64_u32 v[2:3], s[0:1], s8, v54, 0
	s_load_dwordx2 s[6:7], s[4:5], 0x38
	v_mad_u64_u32 v[4:5], s[0:1], s11, v22, v[1:2]
	v_mad_u64_u32 v[5:6], s[0:1], s9, v54, v[3:4]
	v_mov_b32_e32 v1, v4
	v_lshlrev_b64 v[0:1], 2, v[0:1]
	v_mov_b32_e32 v6, s15
	v_mov_b32_e32 v3, v5
	v_add_co_u32_e32 v4, vcc, s14, v0
	v_addc_co_u32_e32 v5, vcc, v6, v1, vcc
	v_lshlrev_b64 v[0:1], 2, v[2:3]
	s_mul_i32 s0, s9, 0xee
	v_add_co_u32_e32 v0, vcc, v4, v0
	v_addc_co_u32_e32 v1, vcc, v5, v1, vcc
	s_mul_hi_u32 s1, s8, 0xee
	global_load_dword v4, v[0:1], off
	s_add_i32 s1, s1, s0
	s_mul_i32 s0, s8, 0xee
	s_lshl_b64 s[14:15], s[0:1], 2
	v_mov_b32_e32 v5, s15
	v_add_co_u32_e32 v0, vcc, s14, v0
	v_addc_co_u32_e32 v1, vcc, v1, v5, vcc
	v_add_co_u32_e32 v2, vcc, s14, v0
	v_addc_co_u32_e32 v3, vcc, v1, v5, vcc
	global_load_dword v6, v[0:1], off
	global_load_dword v7, v[2:3], off
	global_load_dword v53, v43, s[12:13] offset:1904
	s_mul_hi_u32 s1, s8, 0xfffffe57
	s_mul_i32 s0, s9, 0xfffffe57
	s_sub_i32 s1, s1, s8
	s_add_i32 s1, s1, s0
	s_mul_i32 s0, s8, 0xfffffe57
	s_lshl_b64 s[16:17], s[0:1], 2
	v_mov_b32_e32 v8, s17
	v_add_co_u32_e32 v0, vcc, s16, v2
	v_addc_co_u32_e32 v1, vcc, v3, v8, vcc
	global_load_dword v2, v[0:1], off
	global_load_dword v52, v43, s[12:13] offset:204
	v_add_co_u32_e32 v0, vcc, s14, v0
	v_addc_co_u32_e32 v1, vcc, v1, v5, vcc
	global_load_dword v3, v[0:1], off
	global_load_dword v51, v43, s[12:13] offset:1156
	;; [unrolled: 4-line block ×7, first 2 shown]
	global_load_dword v46, v43, s[12:13] offset:612
	v_add_co_u32_e32 v0, vcc, s14, v0
	v_addc_co_u32_e32 v1, vcc, v1, v5, vcc
	global_load_dword v13, v[0:1], off
	v_add_co_u32_e32 v0, vcc, s14, v0
	v_addc_co_u32_e32 v1, vcc, v1, v5, vcc
	s_load_dwordx4 s[8:11], s[2:3], 0x0
	global_load_dword v5, v[0:1], off
	global_load_dword v44, v43, s[12:13] offset:2516
	v_add_co_u32_e32 v20, vcc, s12, v43
	v_addc_co_u32_e32 v21, vcc, 0, v15, vcc
	v_cmp_gt_u16_e64 s[0:1], 34, v54
	s_waitcnt vmcnt(21)
	v_lshrrev_b32_e32 v14, 16, v4
	v_mul_f16_sdwa v15, v56, v14 dst_sel:DWORD dst_unused:UNUSED_PAD src0_sel:WORD_1 src1_sel:DWORD
	v_fma_f16 v15, v56, v4, v15
	v_mul_f16_sdwa v4, v56, v4 dst_sel:DWORD dst_unused:UNUSED_PAD src0_sel:WORD_1 src1_sel:DWORD
	v_fma_f16 v4, v56, v14, -v4
	v_pack_b32_f16 v4, v15, v4
	s_waitcnt vmcnt(20)
	v_lshrrev_b32_e32 v14, 16, v6
	v_mul_f16_sdwa v15, v55, v14 dst_sel:DWORD dst_unused:UNUSED_PAD src0_sel:WORD_1 src1_sel:DWORD
	v_fma_f16 v15, v55, v6, v15
	v_mul_f16_sdwa v6, v55, v6 dst_sel:DWORD dst_unused:UNUSED_PAD src0_sel:WORD_1 src1_sel:DWORD
	v_fma_f16 v6, v55, v14, -v6
	v_pack_b32_f16 v6, v15, v6
	ds_write_b32 v43, v6 offset:952
	s_waitcnt vmcnt(19)
	v_lshrrev_b32_e32 v6, 16, v7
	s_waitcnt vmcnt(18)
	v_mul_f16_sdwa v14, v53, v6 dst_sel:DWORD dst_unused:UNUSED_PAD src0_sel:WORD_1 src1_sel:DWORD
	v_fma_f16 v14, v53, v7, v14
	v_mul_f16_sdwa v7, v53, v7 dst_sel:DWORD dst_unused:UNUSED_PAD src0_sel:WORD_1 src1_sel:DWORD
	v_fma_f16 v6, v53, v6, -v7
	v_pack_b32_f16 v6, v14, v6
	ds_write_b32 v43, v6 offset:1904
	s_waitcnt vmcnt(17)
	v_lshrrev_b32_e32 v6, 16, v2
	s_waitcnt vmcnt(16)
	v_mul_f16_sdwa v7, v52, v6 dst_sel:DWORD dst_unused:UNUSED_PAD src0_sel:WORD_1 src1_sel:DWORD
	v_fma_f16 v7, v52, v2, v7
	v_mul_f16_sdwa v2, v52, v2 dst_sel:DWORD dst_unused:UNUSED_PAD src0_sel:WORD_1 src1_sel:DWORD
	v_fma_f16 v2, v52, v6, -v2
	v_pack_b32_f16 v2, v7, v2
	ds_write2_b32 v43, v4, v2 offset1:51
	s_waitcnt vmcnt(15)
	v_lshrrev_b32_e32 v2, 16, v3
	s_waitcnt vmcnt(14)
	v_mul_f16_sdwa v4, v51, v2 dst_sel:DWORD dst_unused:UNUSED_PAD src0_sel:WORD_1 src1_sel:DWORD
	v_fma_f16 v4, v51, v3, v4
	v_mul_f16_sdwa v3, v51, v3 dst_sel:DWORD dst_unused:UNUSED_PAD src0_sel:WORD_1 src1_sel:DWORD
	v_fma_f16 v2, v51, v2, -v3
	s_waitcnt vmcnt(13)
	v_lshrrev_b32_e32 v3, 16, v9
	v_pack_b32_f16 v2, v4, v2
	s_waitcnt vmcnt(12)
	v_mul_f16_sdwa v4, v50, v3 dst_sel:DWORD dst_unused:UNUSED_PAD src0_sel:WORD_1 src1_sel:DWORD
	v_mul_f16_sdwa v6, v50, v9 dst_sel:DWORD dst_unused:UNUSED_PAD src0_sel:WORD_1 src1_sel:DWORD
	v_fma_f16 v4, v50, v9, v4
	v_fma_f16 v3, v50, v3, -v6
	v_pack_b32_f16 v3, v4, v3
	s_waitcnt vmcnt(11)
	v_lshrrev_b32_e32 v4, 16, v10
	s_waitcnt vmcnt(10)
	v_mul_f16_sdwa v6, v49, v4 dst_sel:DWORD dst_unused:UNUSED_PAD src0_sel:WORD_1 src1_sel:DWORD
	v_mul_f16_sdwa v7, v49, v10 dst_sel:DWORD dst_unused:UNUSED_PAD src0_sel:WORD_1 src1_sel:DWORD
	v_fma_f16 v6, v49, v10, v6
	v_fma_f16 v4, v49, v4, -v7
	v_pack_b32_f16 v7, v6, v4
	s_waitcnt vmcnt(9)
	v_lshrrev_b32_e32 v4, 16, v11
	s_waitcnt vmcnt(8)
	v_mul_f16_sdwa v6, v48, v4 dst_sel:DWORD dst_unused:UNUSED_PAD src0_sel:WORD_1 src1_sel:DWORD
	v_mul_f16_sdwa v9, v48, v11 dst_sel:DWORD dst_unused:UNUSED_PAD src0_sel:WORD_1 src1_sel:DWORD
	v_fma_f16 v6, v48, v11, v6
	v_fma_f16 v4, v48, v4, -v9
	v_pack_b32_f16 v6, v6, v4
	v_add_u32_e32 v4, 0x400, v43
	ds_write2_b32 v4, v2, v6 offset0:33 offset1:84
	s_waitcnt vmcnt(7)
	v_lshrrev_b32_e32 v2, 16, v12
	s_waitcnt vmcnt(6)
	v_mul_f16_sdwa v6, v47, v2 dst_sel:DWORD dst_unused:UNUSED_PAD src0_sel:WORD_1 src1_sel:DWORD
	v_mul_f16_sdwa v9, v47, v12 dst_sel:DWORD dst_unused:UNUSED_PAD src0_sel:WORD_1 src1_sel:DWORD
	v_fma_f16 v6, v47, v12, v6
	v_fma_f16 v2, v47, v2, -v9
	v_pack_b32_f16 v2, v6, v2
	v_add_u32_e32 v6, 0x800, v43
	ds_write2_b32 v6, v3, v2 offset0:15 offset1:66
	s_waitcnt vmcnt(5)
	v_lshrrev_b32_e32 v2, 16, v8
	s_waitcnt vmcnt(3)
	v_mul_f16_sdwa v3, v46, v2 dst_sel:DWORD dst_unused:UNUSED_PAD src0_sel:WORD_1 src1_sel:DWORD
	v_fma_f16 v3, v46, v8, v3
	v_mul_f16_sdwa v8, v46, v8 dst_sel:DWORD dst_unused:UNUSED_PAD src0_sel:WORD_1 src1_sel:DWORD
	v_fma_f16 v2, v46, v2, -v8
	v_pack_b32_f16 v2, v3, v2
	ds_write2_b32 v43, v7, v2 offset0:102 offset1:153
	s_waitcnt vmcnt(2)
	v_lshrrev_b32_e32 v2, 16, v13
	v_mul_f16_sdwa v3, v45, v2 dst_sel:DWORD dst_unused:UNUSED_PAD src0_sel:WORD_1 src1_sel:DWORD
	v_mul_f16_sdwa v7, v45, v13 dst_sel:DWORD dst_unused:UNUSED_PAD src0_sel:WORD_1 src1_sel:DWORD
	v_fma_f16 v3, v45, v13, v3
	v_fma_f16 v2, v45, v2, -v7
	v_pack_b32_f16 v2, v3, v2
	ds_write_b32 v43, v2 offset:1564
	s_waitcnt vmcnt(1)
	v_lshrrev_b32_e32 v2, 16, v5
	s_waitcnt vmcnt(0)
	v_mul_f16_sdwa v3, v44, v2 dst_sel:DWORD dst_unused:UNUSED_PAD src0_sel:WORD_1 src1_sel:DWORD
	v_fma_f16 v3, v44, v5, v3
	v_mul_f16_sdwa v5, v44, v5 dst_sel:DWORD dst_unused:UNUSED_PAD src0_sel:WORD_1 src1_sel:DWORD
	v_fma_f16 v2, v44, v2, -v5
	v_pack_b32_f16 v2, v3, v2
	ds_write_b32 v43, v2 offset:2516
	s_and_saveexec_b64 s[2:3], s[0:1]
	s_cbranch_execz .LBB0_3
; %bb.2:
	v_mov_b32_e32 v2, s17
	v_add_co_u32_e32 v0, vcc, s16, v0
	v_addc_co_u32_e32 v1, vcc, v1, v2, vcc
	global_load_dword v2, v[0:1], off
	global_load_dword v3, v[20:21], off offset:816
	v_mov_b32_e32 v5, s15
	v_add_co_u32_e32 v0, vcc, s14, v0
	v_addc_co_u32_e32 v1, vcc, v1, v5, vcc
	global_load_dword v7, v[0:1], off
	global_load_dword v8, v[20:21], off offset:1768
	v_add_co_u32_e32 v0, vcc, s14, v0
	v_addc_co_u32_e32 v1, vcc, v1, v5, vcc
	global_load_dword v5, v[0:1], off
	global_load_dword v9, v[20:21], off offset:2720
	v_add_u32_e32 v0, 0x300, v43
	s_waitcnt vmcnt(5)
	v_lshrrev_b32_e32 v1, 16, v2
	s_waitcnt vmcnt(4)
	v_mul_f16_sdwa v10, v3, v2 dst_sel:DWORD dst_unused:UNUSED_PAD src0_sel:WORD_1 src1_sel:DWORD
	v_mul_f16_sdwa v11, v3, v1 dst_sel:DWORD dst_unused:UNUSED_PAD src0_sel:WORD_1 src1_sel:DWORD
	v_fma_f16 v1, v3, v1, -v10
	v_fma_f16 v2, v3, v2, v11
	v_pack_b32_f16 v1, v2, v1
	s_waitcnt vmcnt(3)
	v_lshrrev_b32_e32 v10, 16, v7
	s_waitcnt vmcnt(2)
	v_mul_f16_sdwa v12, v8, v7 dst_sel:DWORD dst_unused:UNUSED_PAD src0_sel:WORD_1 src1_sel:DWORD
	v_mul_f16_sdwa v3, v8, v10 dst_sel:DWORD dst_unused:UNUSED_PAD src0_sel:WORD_1 src1_sel:DWORD
	v_fma_f16 v10, v8, v10, -v12
	v_fma_f16 v2, v8, v7, v3
	s_waitcnt vmcnt(1)
	v_lshrrev_b32_e32 v11, 16, v5
	s_waitcnt vmcnt(0)
	v_mul_f16_sdwa v12, v9, v5 dst_sel:DWORD dst_unused:UNUSED_PAD src0_sel:WORD_1 src1_sel:DWORD
	v_mul_f16_sdwa v3, v9, v11 dst_sel:DWORD dst_unused:UNUSED_PAD src0_sel:WORD_1 src1_sel:DWORD
	v_fma_f16 v7, v9, v11, -v12
	v_pack_b32_f16 v2, v2, v10
	v_fma_f16 v3, v9, v5, v3
	ds_write2_b32 v0, v1, v2 offset0:12 offset1:250
	v_pack_b32_f16 v0, v3, v7
	ds_write_b32 v43, v0 offset:2720
.LBB0_3:
	s_or_b64 exec, exec, s[2:3]
	v_add_u32_e32 v0, 0x200, v43
	s_waitcnt lgkmcnt(0)
	; wave barrier
	s_waitcnt lgkmcnt(0)
	ds_read2_b32 v[10:11], v0 offset0:110 offset1:161
	v_add_u32_e32 v0, 0x600, v43
	ds_read2_b32 v[8:9], v43 offset1:51
	ds_read2_b32 v[12:13], v0 offset0:92 offset1:143
	ds_read2_b32 v[2:3], v43 offset0:102 offset1:153
	;; [unrolled: 1-line block ×4, first 2 shown]
                                        ; implicit-def: $vgpr14
                                        ; implicit-def: $vgpr1
	s_and_saveexec_b64 s[2:3], s[0:1]
	s_cbranch_execz .LBB0_5
; %bb.4:
	v_add_u32_e32 v0, 0x300, v43
	ds_read2_b32 v[0:1], v0 offset0:12 offset1:250
	ds_read_b32 v14, v43 offset:2720
.LBB0_5:
	s_or_b64 exec, exec, s[2:3]
	s_load_dwordx2 s[2:3], s[4:5], 0x8
	s_waitcnt lgkmcnt(0)
	v_pk_add_f16 v16, v8, v10
	v_pk_add_f16 v17, v10, v12
	v_pk_add_f16 v10, v10, v12 neg_lo:[0,1] neg_hi:[0,1]
	s_movk_i32 s4, 0x3aee
	v_pk_fma_f16 v8, v17, 0.5, v8 op_sel_hi:[1,0,1] neg_lo:[1,0,0] neg_hi:[1,0,0]
	v_pk_mul_f16 v10, v10, s4 op_sel_hi:[1,0]
	v_pk_add_f16 v17, v8, v10 op_sel:[0,1] op_sel_hi:[1,0]
	v_pk_add_f16 v71, v8, v10 op_sel:[0,1] op_sel_hi:[1,0] neg_lo:[0,1] neg_hi:[0,1]
	v_pk_add_f16 v8, v9, v11
	v_pk_add_f16 v19, v8, v13
	;; [unrolled: 1-line block ×3, first 2 shown]
	v_pk_fma_f16 v8, v8, 0.5, v9 op_sel_hi:[1,0,1] neg_lo:[1,0,0] neg_hi:[1,0,0]
	v_pk_add_f16 v9, v11, v13 neg_lo:[0,1] neg_hi:[0,1]
	v_pk_mul_f16 v9, v9, s4 op_sel_hi:[1,0]
	v_pk_add_f16 v23, v8, v9 op_sel:[0,1] op_sel_hi:[1,0]
	v_pk_add_f16 v24, v8, v9 op_sel:[0,1] op_sel_hi:[1,0] neg_lo:[0,1] neg_hi:[0,1]
	v_pk_add_f16 v8, v2, v4
	v_pk_add_f16 v27, v8, v6
	;; [unrolled: 1-line block ×3, first 2 shown]
	v_pk_add_f16 v4, v4, v6 neg_lo:[0,1] neg_hi:[0,1]
	v_pk_fma_f16 v2, v8, 0.5, v2 op_sel_hi:[1,0,1] neg_lo:[1,0,0] neg_hi:[1,0,0]
	v_pk_mul_f16 v4, v4, s4 op_sel_hi:[1,0]
	v_pk_add_f16 v28, v2, v4 op_sel:[0,1] op_sel_hi:[1,0]
	v_pk_add_f16 v30, v2, v4 op_sel:[0,1] op_sel_hi:[1,0] neg_lo:[0,1] neg_hi:[0,1]
	v_pk_add_f16 v2, v3, v5
	v_pk_add_f16 v26, v2, v7
	;; [unrolled: 1-line block ×3, first 2 shown]
	v_pk_fma_f16 v2, v2, 0.5, v3 op_sel_hi:[1,0,1] neg_lo:[1,0,0] neg_hi:[1,0,0]
	v_pk_add_f16 v3, v5, v7 neg_lo:[0,1] neg_hi:[0,1]
	v_pk_mul_f16 v3, v3, s4 op_sel_hi:[1,0]
	v_pk_add_f16 v29, v2, v3 op_sel:[0,1] op_sel_hi:[1,0]
	v_pk_add_f16 v40, v2, v3 op_sel:[0,1] op_sel_hi:[1,0] neg_lo:[0,1] neg_hi:[0,1]
	v_pk_add_f16 v2, v1, v0
	v_pk_add_f16 v31, v14, v2
	;; [unrolled: 1-line block ×3, first 2 shown]
	v_pk_add_f16 v1, v1, v14 neg_lo:[0,1] neg_hi:[0,1]
	v_pk_fma_f16 v0, v2, 0.5, v0 op_sel_hi:[1,0,1] neg_lo:[1,0,0] neg_hi:[1,0,0]
	v_pk_mul_f16 v1, v1, s4 op_sel_hi:[1,0]
	v_pk_add_f16 v32, v0, v1 op_sel:[0,1] op_sel_hi:[1,0]
	v_pk_add_f16 v69, v0, v1 op_sel:[0,1] op_sel_hi:[1,0] neg_lo:[0,1] neg_hi:[0,1]
	v_mul_lo_u16_e32 v0, 3, v54
	s_mov_b32 s14, 0xffff
	v_add_u32_e32 v15, 51, v54
	v_lshlrev_b32_e32 v192, 2, v0
	v_bfi_b32 v0, s14, v71, v17
	v_bfi_b32 v1, s14, v17, v71
	s_waitcnt lgkmcnt(0)
	; wave barrier
	ds_write2_b32 v192, v1, v0 offset0:1 offset1:2
	v_mul_u32_u24_e32 v0, 3, v15
	v_add_u32_e32 v18, 0x66, v54
	v_pk_add_f16 v16, v16, v12
	v_lshlrev_b32_e32 v60, 2, v0
	v_bfi_b32 v0, s14, v24, v23
	v_bfi_b32 v1, s14, v23, v24
	ds_write_b32 v192, v16
	ds_write2_b32 v60, v1, v0 offset0:1 offset1:2
	v_mul_u32_u24_e32 v0, 3, v18
	v_add_u32_e32 v25, 0x99, v54
	v_lshlrev_b32_e32 v62, 2, v0
	v_bfi_b32 v0, s14, v30, v28
	v_bfi_b32 v1, s14, v28, v30
	v_add_co_u32_e32 v33, vcc, 0xcc, v54
	ds_write_b32 v60, v19
	ds_write2_b32 v62, v1, v0 offset0:1 offset1:2
	v_mul_u32_u24_e32 v0, 3, v25
	v_lshrrev_b32_e32 v37, 16, v32
	v_lshlrev_b32_e32 v63, 2, v0
	v_bfi_b32 v0, s14, v40, v29
	v_bfi_b32 v1, s14, v29, v40
	v_mul_u32_u24_e32 v202, 3, v33
	ds_write_b32 v62, v27
	ds_write_b32 v63, v26
	ds_write2_b32 v63, v1, v0 offset0:1 offset1:2
	s_and_saveexec_b64 s[4:5], s[0:1]
	s_cbranch_execz .LBB0_7
; %bb.6:
	v_bfi_b32 v1, s14, v32, v69
	s_mov_b32 s14, 0x5040100
	v_lshlrev_b32_e32 v0, 2, v202
	v_perm_b32 v2, v37, v69, s14
	ds_write_b32 v0, v31
	ds_write2_b32 v0, v1, v2 offset0:1 offset1:2
.LBB0_7:
	s_or_b64 exec, exec, s[4:5]
	v_lshrrev_b32_e32 v70, 16, v17
	v_lshrrev_b32_e32 v67, 16, v23
	;; [unrolled: 1-line block ×4, first 2 shown]
	v_cmp_gt_u16_e32 vcc, 42, v54
	s_waitcnt lgkmcnt(0)
	; wave barrier
	s_waitcnt lgkmcnt(0)
                                        ; implicit-def: $vgpr34
                                        ; implicit-def: $vgpr74
                                        ; implicit-def: $vgpr73
                                        ; implicit-def: $vgpr75
	s_and_saveexec_b64 s[4:5], vcc
	s_cbranch_execz .LBB0_9
; %bb.8:
	v_add_u32_e32 v0, 0x400, v43
	ds_read2_b32 v[18:19], v43 offset0:84 offset1:126
	ds_read2_b32 v[23:24], v43 offset0:168 offset1:210
	ds_read2_b32 v[16:17], v43 offset1:42
	ds_read2_b32 v[25:26], v0 offset0:80 offset1:122
	v_add_u32_e32 v1, 0x200, v43
	ds_read2_b32 v[29:30], v0 offset0:164 offset1:206
	ds_read2_b32 v[27:28], v1 offset0:124 offset1:166
	v_add_u32_e32 v0, 0x800, v43
	ds_read2_b32 v[33:34], v0 offset0:76 offset1:118
	v_add_u32_e32 v0, 0x600, v43
	ds_read_b32 v73, v43 offset:2688
	ds_read2_b32 v[31:32], v0 offset0:120 offset1:162
	s_mov_b32 s14, 0xffff
	s_waitcnt lgkmcnt(8)
	v_lshrrev_b32_e32 v70, 16, v18
	s_waitcnt lgkmcnt(7)
	v_lshrrev_b32_e32 v67, 16, v24
	;; [unrolled: 2-line block ×5, first 2 shown]
	v_lshrrev_b32_e32 v74, 16, v34
	s_waitcnt lgkmcnt(1)
	v_lshrrev_b32_e32 v75, 16, v73
	s_waitcnt lgkmcnt(0)
	v_bfi_b32 v69, s14, v33, v32
	v_bfi_b32 v40, s14, v30, v29
	;; [unrolled: 1-line block ×5, first 2 shown]
.LBB0_9:
	s_or_b64 exec, exec, s[4:5]
	s_movk_i32 s4, 0xab
	v_mul_lo_u16_sdwa v0, v54, s4 dst_sel:DWORD dst_unused:UNUSED_PAD src0_sel:BYTE_0 src1_sel:DWORD
	v_lshrrev_b16_e32 v186, 9, v0
	v_mul_lo_u16_e32 v0, 3, v186
	v_sub_u16_e32 v0, v54, v0
	v_and_b32_e32 v187, 0xff, v0
	v_lshlrev_b32_e32 v18, 6, v187
	global_load_dwordx4 v[8:11], v18, s[2:3]
	global_load_dwordx4 v[0:3], v18, s[2:3] offset:16
	global_load_dwordx4 v[4:7], v18, s[2:3] offset:32
	;; [unrolled: 1-line block ×3, first 2 shown]
	v_lshrrev_b32_e32 v18, 16, v19
	v_lshrrev_b32_e32 v76, 16, v27
	;; [unrolled: 1-line block ×9, first 2 shown]
	s_movk_i32 s14, 0x3b76
	s_movk_i32 s15, 0x39e9
	;; [unrolled: 1-line block ×4, first 2 shown]
	s_mov_b32 s18, 0xb8d2
	s_mov_b32 s19, 0xbbdd
	;; [unrolled: 1-line block ×9, first 2 shown]
	s_movk_i32 s38, 0x31e1
	s_mov_b32 s27, 0xb1e1
	s_movk_i32 s26, 0x3bb2
	s_mov_b32 s33, 0xbbb2
	s_movk_i32 s31, 0x3836
	s_movk_i32 s23, 0x3964
	s_mov_b32 s24, 0xb836
	s_movk_i32 s35, 0x3b29
	s_movk_i32 s28, 0x35c8
	s_waitcnt lgkmcnt(0)
	; wave barrier
	s_waitcnt vmcnt(3) lgkmcnt(0)
	v_mul_f16_sdwa v33, v18, v10 dst_sel:DWORD dst_unused:UNUSED_PAD src0_sel:DWORD src1_sel:WORD_1
	v_mul_f16_sdwa v83, v23, v11 dst_sel:DWORD dst_unused:UNUSED_PAD src0_sel:DWORD src1_sel:WORD_1
	s_waitcnt vmcnt(2)
	v_mul_f16_sdwa v36, v76, v1 dst_sel:DWORD dst_unused:UNUSED_PAD src0_sel:DWORD src1_sel:WORD_1
	v_mul_f16_sdwa v85, v28, v2 dst_sel:DWORD dst_unused:UNUSED_PAD src0_sel:DWORD src1_sel:WORD_1
	;; [unrolled: 1-line block ×3, first 2 shown]
	s_waitcnt vmcnt(1)
	v_mul_f16_sdwa v99, v72, v6 dst_sel:DWORD dst_unused:UNUSED_PAD src0_sel:DWORD src1_sel:WORD_1
	s_waitcnt vmcnt(0)
	v_mul_f16_sdwa v104, v73, v15 dst_sel:DWORD dst_unused:UNUSED_PAD src0_sel:DWORD src1_sel:WORD_1
	v_mul_f16_sdwa v107, v17, v8 dst_sel:DWORD dst_unused:UNUSED_PAD src0_sel:DWORD src1_sel:WORD_1
	;; [unrolled: 1-line block ×15, first 2 shown]
	v_fma_f16 v64, v19, v10, -v33
	v_fma_f16 v41, v27, v1, -v36
	v_fma_f16 v19, v25, v11, v83
	v_fma_f16 v25, v77, v2, v85
	;; [unrolled: 1-line block ×3, first 2 shown]
	v_fma_f16 v68, v40, v6, -v99
	v_fma_f16 v40, v75, v15, v104
	v_fma_f16 v77, v82, v8, v107
	v_mul_f16_sdwa v39, v78, v4 dst_sel:DWORD dst_unused:UNUSED_PAD src0_sel:DWORD src1_sel:WORD_1
	v_mul_f16_sdwa v86, v26, v4 dst_sel:DWORD dst_unused:UNUSED_PAD src0_sel:DWORD src1_sel:WORD_1
	;; [unrolled: 1-line block ×7, first 2 shown]
	v_fma_f16 v33, v34, v14, -v93
	v_fma_f16 v18, v18, v10, v66
	v_fma_f16 v66, v24, v0, -v95
	v_fma_f16 v24, v76, v1, v84
	v_fma_f16 v34, v37, v13, v102
	;; [unrolled: 1-line block ×3, first 2 shown]
	v_fma_f16 v76, v73, v15, -v103
	v_fma_f16 v70, v70, v9, v105
	v_fma_f16 v17, v17, v8, -v108
	v_sub_f16_e32 v133, v77, v40
	v_mul_f16_sdwa v89, v80, v7 dst_sel:DWORD dst_unused:UNUSED_PAD src0_sel:DWORD src1_sel:WORD_1
	v_mul_f16_sdwa v90, v81, v12 dst_sel:DWORD dst_unused:UNUSED_PAD src0_sel:DWORD src1_sel:WORD_1
	v_mul_f16_sdwa v91, v31, v7 dst_sel:DWORD dst_unused:UNUSED_PAD src0_sel:DWORD src1_sel:WORD_1
	v_mul_f16_sdwa v92, v32, v12 dst_sel:DWORD dst_unused:UNUSED_PAD src0_sel:DWORD src1_sel:WORD_1
	v_fma_f16 v42, v28, v2, -v38
	v_fma_f16 v38, v26, v4, -v39
	;; [unrolled: 1-line block ×3, first 2 shown]
	v_fma_f16 v28, v78, v4, v86
	v_fma_f16 v29, v79, v5, v88
	v_fma_f16 v78, v71, v9, -v106
	v_add_f16_e32 v87, v17, v76
	v_sub_f16_e32 v144, v70, v37
	v_mul_f16_e32 v79, 0xb5c8, v133
	v_fma_f16 v65, v23, v11, -v35
	v_fma_f16 v35, v31, v7, -v89
	;; [unrolled: 1-line block ×3, first 2 shown]
	v_fma_f16 v31, v80, v7, v91
	v_fma_f16 v32, v81, v12, v92
	v_add_f16_e32 v92, v78, v33
	v_fma_f16 v26, v87, s14, v79
	v_mul_f16_e32 v80, 0xb964, v144
	v_sub_f16_e32 v99, v17, v76
	v_fma_f16 v69, v69, v13, -v101
	v_add_f16_e32 v26, v16, v26
	v_fma_f16 v71, v92, s15, v80
	v_add_f16_e32 v151, v77, v40
	v_mul_f16_e32 v81, 0xb5c8, v99
	v_sub_f16_e32 v101, v78, v33
	v_add_f16_e32 v26, v71, v26
	v_fma_f16 v71, v151, s14, -v81
	v_add_f16_e32 v152, v70, v37
	v_mul_f16_e32 v82, 0xb964, v101
	v_fma_f16 v23, v67, v0, v96
	v_fma_f16 v67, v30, v3, -v97
	v_fma_f16 v30, v72, v6, v100
	v_add_f16_sdwa v71, v16, v71 dst_sel:DWORD dst_unused:UNUSED_PAD src0_sel:WORD_1 src1_sel:DWORD
	v_fma_f16 v72, v152, s15, -v82
	v_mul_f16_e32 v84, 0xb964, v133
	v_add_f16_e32 v71, v72, v71
	v_fma_f16 v72, v87, s15, v84
	v_mul_f16_e32 v85, 0xbbf7, v144
	v_add_f16_e32 v72, v16, v72
	v_fma_f16 v73, v92, s16, v85
	v_mul_f16_e32 v88, 0xb964, v99
	v_add_f16_e32 v72, v73, v72
	v_fma_f16 v73, v151, s15, -v88
	v_mul_f16_e32 v89, 0xbbf7, v101
	v_add_f16_sdwa v73, v16, v73 dst_sel:DWORD dst_unused:UNUSED_PAD src0_sel:WORD_1 src1_sel:DWORD
	v_fma_f16 v74, v152, s16, -v89
	v_mul_f16_e32 v93, 0xbb29, v133
	v_add_f16_e32 v73, v74, v73
	v_fma_f16 v74, v87, s17, v93
	v_mul_f16_e32 v95, 0xba62, v144
	v_add_f16_e32 v74, v16, v74
	v_fma_f16 v75, v92, s18, v95
	v_mul_f16_e32 v100, 0xbb29, v99
	v_add_f16_e32 v74, v75, v74
	v_fma_f16 v75, v151, s17, -v100
	v_mul_f16_e32 v102, 0xba62, v101
	v_add_f16_sdwa v75, v16, v75 dst_sel:DWORD dst_unused:UNUSED_PAD src0_sel:WORD_1 src1_sel:DWORD
	v_fma_f16 v83, v152, s18, -v102
	v_sub_f16_e32 v154, v18, v34
	v_add_f16_e32 v75, v83, v75
	v_add_f16_e32 v107, v64, v69
	v_mul_f16_e32 v83, 0xbb29, v154
	v_fma_f16 v86, v107, s17, v83
	v_sub_f16_e32 v113, v64, v69
	v_add_f16_e32 v26, v86, v26
	v_add_f16_e32 v156, v18, v34
	v_mul_f16_e32 v86, 0xbb29, v113
	v_fma_f16 v90, v156, s17, -v86
	v_mul_f16_e32 v91, 0xba62, v154
	v_add_f16_e32 v71, v90, v71
	v_fma_f16 v90, v107, s18, v91
	v_mul_f16_e32 v97, 0xba62, v113
	v_add_f16_e32 v72, v90, v72
	v_fma_f16 v90, v156, s18, -v97
	v_mul_f16_e32 v104, 0x31e1, v154
	v_add_f16_e32 v73, v90, v73
	v_fma_f16 v90, v107, s19, v104
	v_mul_f16_e32 v109, 0x31e1, v113
	v_add_f16_e32 v74, v90, v74
	v_fma_f16 v90, v156, s19, -v109
	v_sub_f16_e32 v155, v19, v32
	v_add_f16_e32 v75, v90, v75
	v_add_f16_e32 v114, v65, v36
	v_mul_f16_e32 v90, 0xbbf7, v155
	v_fma_f16 v94, v114, s16, v90
	v_sub_f16_e32 v121, v65, v36
	v_add_f16_e32 v26, v94, v26
	v_add_f16_e32 v158, v19, v32
	v_mul_f16_e32 v94, 0xbbf7, v121
	v_fma_f16 v96, v158, s16, -v94
	v_mul_f16_e32 v98, 0xb1e1, v155
	v_add_f16_e32 v71, v96, v71
	v_fma_f16 v96, v114, s19, v98
	v_mul_f16_e32 v106, 0xb1e1, v121
	v_add_f16_e32 v72, v96, v72
	v_fma_f16 v96, v158, s19, -v106
	v_mul_f16_e32 v111, 0x3bb2, v155
	v_add_f16_e32 v73, v96, v73
	v_fma_f16 v96, v114, s20, v111
	v_mul_f16_e32 v117, 0x3bb2, v121
	v_add_f16_e32 v74, v96, v74
	;; [unrolled: 22-line block ×4, first 2 shown]
	v_fma_f16 v112, v162, s14, -v131
	v_sub_f16_e32 v161, v25, v29
	v_add_f16_e32 v75, v112, v75
	v_add_f16_e32 v137, v42, v39
	v_mul_f16_e32 v112, 0xb836, v161
	v_fma_f16 v118, v137, s21, v112
	v_sub_f16_e32 v148, v42, v39
	v_add_f16_e32 v26, v118, v26
	v_add_f16_e32 v165, v25, v29
	v_mul_f16_e32 v118, 0xb836, v148
	v_fma_f16 v119, v165, s21, -v118
	v_mul_f16_e32 v124, 0x3b29, v161
	v_add_f16_e32 v71, v119, v71
	v_fma_f16 v119, v137, s17, v124
	v_mul_f16_e32 v128, 0x3b29, v148
	v_add_f16_e32 v135, v119, v72
	v_fma_f16 v72, v165, s17, -v128
	v_mul_f16_e32 v132, 0xbbf7, v161
	v_add_f16_e32 v138, v72, v73
	v_fma_f16 v72, v137, s16, v132
	v_mul_f16_e32 v143, 0xbbf7, v148
	v_sub_f16_e32 v163, v27, v28
	v_add_f16_e32 v74, v72, v74
	v_fma_f16 v72, v165, s16, -v143
	v_add_f16_e32 v149, v67, v38
	v_mul_f16_e32 v119, 0xb1e1, v163
	v_sub_f16_e32 v153, v67, v38
	v_add_f16_e32 v75, v72, v75
	v_fma_f16 v72, v149, s19, v119
	v_add_f16_e32 v164, v27, v28
	v_mul_f16_e32 v125, 0xb1e1, v153
	v_add_f16_e32 v72, v72, v26
	v_fma_f16 v26, v164, s19, -v125
	v_mul_f16_e32 v134, 0x35c8, v153
	v_add_f16_e32 v73, v26, v71
	v_fma_f16 v26, v164, s14, -v134
	v_mul_f16_e32 v147, 0xb836, v163
	v_add_f16_e32 v71, v26, v138
	v_fma_f16 v26, v149, s21, v147
	v_mul_f16_e32 v150, 0xb836, v153
	v_add_f16_e32 v74, v26, v74
	v_fma_f16 v26, v164, s21, -v150
	v_mul_f16_e32 v140, 0x35c8, v163
	v_add_f16_e32 v75, v26, v75
	v_fma_f16 v26, v149, s14, v140
	v_add_f16_e32 v26, v26, v135
	s_and_saveexec_b64 s[4:5], vcc
	s_cbranch_execz .LBB0_11
; %bb.10:
	v_mul_f16_e32 v57, 0x3b76, v87
	buffer_store_dword v57, off, s[40:43], 0 ; 4-byte Folded Spill
	v_mul_f16_e32 v57, 0x3b76, v151
	buffer_store_dword v57, off, s[40:43], 0 offset:24 ; 4-byte Folded Spill
	v_mul_f16_e32 v57, 0x39e9, v87
	buffer_store_dword v57, off, s[40:43], 0 offset:60 ; 4-byte Folded Spill
	;; [unrolled: 2-line block ×7, first 2 shown]
	v_mul_f16_e32 v57, 0x3722, v156
	v_mul_f16_e32 v206, 0x2de8, v151
	s_movk_i32 s36, 0x3bf7
	buffer_store_dword v57, off, s[40:43], 0 offset:40 ; 4-byte Folded Spill
	v_mul_f16_e32 v57, 0xb8d2, v107
	v_fma_f16 v138, v99, s36, v206
	v_mul_f16_e32 v207, 0xbbdd, v152
	buffer_store_dword v57, off, s[40:43], 0 offset:76 ; 4-byte Folded Spill
	v_mul_f16_e32 v57, 0x2de8, v114
	v_add_f16_sdwa v138, v16, v138 dst_sel:DWORD dst_unused:UNUSED_PAD src0_sel:WORD_1 src1_sel:DWORD
	v_fma_f16 v208, v101, s38, v207
	buffer_store_dword v57, off, s[40:43], 0 offset:16 ; 4-byte Folded Spill
	v_mul_f16_e32 v57, 0x2de8, v158
	v_add_f16_e32 v138, v208, v138
	v_mul_f16_e32 v208, 0xb461, v156
	buffer_store_dword v57, off, s[40:43], 0 offset:52 ; 4-byte Folded Spill
	v_mul_f16_e32 v57, 0xbbdd, v114
	v_fma_f16 v209, v113, s33, v208
	buffer_store_dword v57, off, s[40:43], 0 offset:84 ; 4-byte Folded Spill
	v_mul_f16_e32 v57, 0xb461, v123
	v_add_f16_e32 v138, v209, v138
	v_mul_f16_e32 v209, 0x3b76, v158
	buffer_store_dword v57, off, s[40:43], 0 offset:20 ; 4-byte Folded Spill
	v_mul_f16_e32 v57, 0xb461, v160
	;; [unrolled: 7-line block ×6, first 2 shown]
	v_fma_f16 v214, v153, s34, v213
	buffer_store_dword v57, off, s[40:43], 0 offset:80 ; 4-byte Folded Spill
	v_add_f16_e32 v57, v214, v138
	v_mul_f16_e32 v214, 0xbbf7, v133
	v_fma_f16 v215, v87, s16, v214
	v_mul_f16_e32 v216, 0xb1e1, v144
	v_add_f16_e32 v215, v16, v215
	v_fma_f16 v217, v92, s19, v216
	v_add_f16_e32 v215, v217, v215
	v_mul_f16_e32 v217, 0x3bb2, v154
	v_fma_f16 v218, v107, s20, v217
	v_add_f16_e32 v215, v218, v215
	v_mul_f16_e32 v218, 0x35c8, v155
	;; [unrolled: 3-line block ×6, first 2 shown]
	v_fma_f16 v223, v149, s15, v222
	buffer_store_dword v57, off, s[40:43], 0 offset:4 ; 4-byte Folded Spill
	v_add_f16_e32 v57, v223, v215
	v_mul_f16_e32 v223, 0xb461, v151
	v_fma_f16 v224, v99, s26, v223
	v_mul_f16_e32 v225, 0xbacd, v152
	v_add_f16_sdwa v224, v16, v224 dst_sel:DWORD dst_unused:UNUSED_PAD src0_sel:WORD_1 src1_sel:DWORD
	v_fma_f16 v226, v101, s24, v225
	v_add_f16_e32 v224, v226, v224
	v_mul_f16_e32 v226, 0x39e9, v156
	v_fma_f16 v227, v113, s34, v226
	v_add_f16_e32 v224, v227, v224
	v_mul_f16_e32 v227, 0x3722, v158
	;; [unrolled: 3-line block ×5, first 2 shown]
	v_fma_f16 v231, v148, s28, v230
	s_movk_i32 s37, 0x3a62
	v_add_f16_e32 v224, v231, v224
	v_mul_f16_e32 v231, 0xb8d2, v164
	v_fma_f16 v232, v153, s37, v231
	v_add_f16_e32 v224, v232, v224
	v_mul_f16_e32 v232, 0xbbb2, v133
	v_fma_f16 v233, v87, s20, v232
	v_mul_f16_e32 v234, 0x3836, v144
	v_add_f16_e32 v233, v16, v233
	v_fma_f16 v235, v92, s21, v234
	v_add_f16_e32 v233, v235, v233
	v_mul_f16_e32 v235, 0x3964, v154
	v_fma_f16 v236, v107, s15, v235
	v_add_f16_e32 v233, v236, v233
	v_mul_f16_e32 v236, 0xbb29, v155
	;; [unrolled: 3-line block ×7, first 2 shown]
	v_fma_f16 v242, v99, s37, v241
	v_mul_f16_e32 v243, 0xb461, v152
	v_add_f16_sdwa v242, v16, v242 dst_sel:DWORD dst_unused:UNUSED_PAD src0_sel:WORD_1 src1_sel:DWORD
	v_fma_f16 v244, v101, s33, v243
	v_add_f16_e32 v242, v244, v242
	v_mul_f16_e32 v244, 0x3b76, v156
	v_fma_f16 v245, v113, s28, v244
	v_add_f16_e32 v242, v245, v242
	v_mul_f16_e32 v245, 0xbacd, v158
	;; [unrolled: 3-line block ×7, first 2 shown]
	v_fma_f16 v251, v87, s18, v250
	v_mul_f16_e32 v252, 0x3bb2, v144
	v_add_f16_e32 v251, v16, v251
	v_fma_f16 v253, v92, s20, v252
	v_add_f16_e32 v251, v253, v251
	v_mul_f16_e32 v253, 0xb5c8, v154
	v_fma_f16 v254, v107, s14, v253
	v_add_f16_e32 v251, v254, v251
	v_mul_f16_e32 v254, 0xb836, v155
	;; [unrolled: 3-line block ×4, first 2 shown]
	buffer_store_dword v57, off, s[40:43], 0 offset:48 ; 4-byte Folded Spill
	v_fma_f16 v57, v130, s15, v251
	v_add_f16_e32 v57, v57, v61
	v_mul_f16_e32 v61, 0xb1e1, v161
	v_fma_f16 v58, v137, s19, v61
	v_add_f16_e32 v57, v58, v57
	v_mul_f16_e32 v58, 0x3b29, v163
	;; [unrolled: 3-line block ×3, first 2 shown]
	v_fma_f16 v138, v99, s31, v135
	v_mul_f16_e32 v59, 0x3722, v152
	v_add_f16_sdwa v138, v16, v138 dst_sel:DWORD dst_unused:UNUSED_PAD src0_sel:WORD_1 src1_sel:DWORD
	v_fma_f16 v141, v101, s22, v59
	v_add_f16_e32 v138, v141, v138
	v_mul_f16_e32 v141, 0x2de8, v156
	v_fma_f16 v142, v113, s36, v141
	v_add_f16_e32 v138, v142, v138
	v_mul_f16_e32 v142, 0xb8d2, v158
	;; [unrolled: 3-line block ×7, first 2 shown]
	v_fma_f16 v175, v87, s21, v196
	v_mul_f16_e32 v139, 0x3b29, v144
	v_add_f16_e32 v175, v16, v175
	v_fma_f16 v215, v92, s17, v139
	v_add_f16_e32 v175, v215, v175
	v_mul_f16_e32 v215, 0xbbf7, v154
	v_fma_f16 v180, v107, s16, v215
	v_add_f16_e32 v175, v180, v175
	v_mul_f16_e32 v180, 0x3a62, v155
	;; [unrolled: 3-line block ×6, first 2 shown]
	v_mul_f16_e32 v169, 0x3722, v151
	v_fma_f16 v197, v149, s20, v171
	v_mul_f16_e32 v151, 0xbbdd, v151
	v_mul_f16_e32 v172, 0x2de8, v152
	;; [unrolled: 1-line block ×3, first 2 shown]
	v_add_f16_e32 v166, v197, v166
	v_fma_f16 v197, v99, s38, v151
	v_mul_f16_e32 v152, 0x3b76, v152
	v_mul_f16_e32 v177, 0xb8d2, v156
	;; [unrolled: 1-line block ×3, first 2 shown]
	v_add_f16_sdwa v197, v16, v197 dst_sel:DWORD dst_unused:UNUSED_PAD src0_sel:WORD_1 src1_sel:DWORD
	v_fma_f16 v176, v101, s29, v152
	v_mul_f16_e32 v156, 0xbacd, v156
	v_mul_f16_e32 v182, 0xbbdd, v158
	v_mul_f16_e32 v184, 0xb461, v158
	v_add_f16_e32 v176, v176, v197
	v_fma_f16 v197, v113, s31, v156
	v_mul_f16_e32 v158, 0x39e9, v158
	v_mul_f16_e32 v167, 0xbacd, v160
	v_mul_f16_e32 v189, 0x39e9, v160
	v_add_f16_e32 v176, v197, v176
	v_fma_f16 v197, v121, s34, v158
	v_mul_f16_e32 v160, 0xb8d2, v160
	v_mul_f16_e32 v193, 0xb461, v162
	v_mul_f16_e32 v195, 0x3b76, v162
	v_add_f16_e32 v176, v197, v176
	v_fma_f16 v197, v129, s37, v160
	v_mul_f16_e32 v162, 0x3722, v162
	v_mul_f16_e32 v199, 0x3722, v165
	v_mul_f16_e32 v201, 0x2de8, v165
	v_add_f16_e32 v176, v197, v176
	v_fma_f16 v197, v136, s22, v162
	v_mul_f16_e32 v165, 0xb461, v165
	v_add_f16_e32 v176, v197, v176
	v_fma_f16 v197, v148, s26, v165
	v_add_f16_e32 v176, v197, v176
	v_mul_f16_e32 v197, 0x2de8, v164
	v_fma_f16 v203, v153, s25, v197
	v_mul_f16_e32 v133, 0xb1e1, v133
	v_add_f16_e32 v176, v203, v176
	v_fma_f16 v203, v87, s19, v133
	v_mul_f16_e32 v144, 0x35c8, v144
	v_mul_f16_e32 v168, 0x3722, v87
	v_add_f16_e32 v203, v16, v203
	v_fma_f16 v181, v92, s14, v144
	v_mul_f16_e32 v154, 0xb836, v154
	;; [unrolled: 4-line block ×3, first 2 shown]
	v_sub_f16_e32 v93, v168, v93
	v_mul_f16_e32 v178, 0xbbdd, v107
	v_add_f16_e32 v181, v203, v181
	v_fma_f16 v203, v114, s15, v155
	v_mul_f16_e32 v157, 0xba62, v157
	v_add_f16_e32 v93, v16, v93
	v_sub_f16_e32 v95, v173, v95
	v_mul_f16_e32 v183, 0xb461, v114
	v_add_f16_e32 v181, v203, v181
	v_fma_f16 v203, v123, s18, v157
	v_mul_f16_e32 v159, 0x3b29, v159
	v_add_f16_e32 v93, v95, v93
	;; [unrolled: 6-line block ×4, first 2 shown]
	v_sub_f16_e32 v95, v188, v120
	v_mul_f16_e32 v200, 0x2de8, v137
	v_add_f16_e32 v181, v203, v181
	v_fma_f16 v203, v149, s16, v163
	v_add_f16_e32 v93, v95, v93
	v_sub_f16_e32 v95, v194, v127
	v_add_f16_e32 v181, v203, v181
	v_mul_f16_e32 v203, 0xbacd, v149
	v_add_f16_e32 v93, v95, v93
	v_sub_f16_e32 v95, v200, v132
	v_add_f16_e32 v93, v95, v93
	v_sub_f16_e32 v95, v203, v147
	v_add_f16_e32 v93, v95, v93
	buffer_load_dword v95, off, s[40:43], 0 offset:92 ; 4-byte Folded Reload
	v_add_f16_e32 v89, v89, v172
	v_mul_f16_e32 v205, 0x3b76, v164
	v_mul_f16_e32 v198, 0x3722, v137
	v_mul_f16_e32 v204, 0x3b76, v149
	v_fma_f16 v135, v99, s24, v135
	v_add_f16_sdwa v135, v16, v135 dst_sel:DWORD dst_unused:UNUSED_PAD src0_sel:WORD_1 src1_sel:DWORD
	v_fma_f16 v59, v101, s35, v59
	v_add_f16_e32 v59, v59, v135
	v_fma_f16 v135, v113, s25, v141
	v_add_f16_e32 v59, v135, v59
	;; [unrolled: 2-line block ×7, first 2 shown]
	v_fma_f16 v135, v87, s21, -v196
	v_add_f16_e32 v135, v16, v135
	v_fma_f16 v139, v92, s17, -v139
	v_add_f16_e32 v135, v139, v135
	;; [unrolled: 2-line block ×8, first 2 shown]
	v_fma_f16 v139, v99, s30, v241
	v_add_f16_sdwa v139, v16, v139 dst_sel:DWORD dst_unused:UNUSED_PAD src0_sel:WORD_1 src1_sel:DWORD
	v_fma_f16 v141, v101, s26, v243
	v_add_f16_e32 v139, v141, v139
	v_fma_f16 v141, v113, s29, v244
	v_add_f16_e32 v139, v141, v139
	v_fma_f16 v141, v121, s24, v245
	v_add_f16_e32 v139, v141, v139
	v_fma_f16 v141, v129, s36, v246
	v_add_f16_e32 v139, v141, v139
	v_fma_f16 v141, v136, s34, v247
	v_add_f16_e32 v139, v141, v139
	v_fma_f16 v141, v148, s27, v248
	v_add_f16_e32 v139, v141, v139
	v_fma_f16 v141, v153, s35, v249
	v_add_f16_e32 v139, v141, v139
	v_fma_f16 v141, v87, s18, -v250
	v_add_f16_e32 v141, v16, v141
	v_fma_f16 v142, v92, s20, -v252
	v_add_f16_e32 v141, v142, v141
	v_fma_f16 v142, v107, s14, -v253
	v_add_f16_e32 v141, v142, v141
	v_fma_f16 v142, v114, s21, -v254
	v_add_f16_e32 v141, v142, v141
	v_fma_f16 v142, v123, s16, -v255
	v_add_f16_e32 v141, v142, v141
	v_fma_f16 v142, v130, s15, -v251
	v_add_f16_e32 v141, v142, v141
	v_fma_f16 v61, v137, s19, -v61
	v_add_f16_e32 v61, v61, v141
	v_fma_f16 v58, v149, s17, -v58
	v_add_f16_e32 v58, v58, v61
	v_fma_f16 v61, v99, s33, v223
	v_add_f16_sdwa v61, v16, v61 dst_sel:DWORD dst_unused:UNUSED_PAD src0_sel:WORD_1 src1_sel:DWORD
	v_fma_f16 v141, v101, s31, v225
	v_add_f16_e32 v61, v141, v61
	v_fma_f16 v141, v113, s23, v226
	v_add_f16_e32 v61, v141, v61
	;; [unrolled: 2-line block ×4, first 2 shown]
	v_fma_f16 v141, v136, s36, v229
	s_waitcnt vmcnt(0)
	v_add_f16_e32 v88, v88, v95
	v_add_f16_sdwa v88, v16, v88 dst_sel:DWORD dst_unused:UNUSED_PAD src0_sel:WORD_1 src1_sel:DWORD
	v_add_f16_e32 v88, v89, v88
	v_add_f16_e32 v89, v97, v177
	;; [unrolled: 1-line block ×13, first 2 shown]
	buffer_load_dword v89, off, s[40:43], 0 offset:60 ; 4-byte Folded Reload
	v_add_f16_e32 v61, v141, v61
	v_fma_f16 v141, v148, s29, v230
	v_add_f16_e32 v61, v141, v61
	v_fma_f16 v141, v153, s30, v231
	v_fma_f16 v133, v87, s19, -v133
	v_add_f16_e32 v61, v141, v61
	v_fma_f16 v141, v87, s20, -v232
	v_fma_f16 v87, v87, s16, -v214
	;; [unrolled: 1-line block ×4, first 2 shown]
	v_add_f16_e32 v87, v16, v87
	v_fma_f16 v92, v92, s19, -v216
	v_add_f16_e32 v87, v92, v87
	v_fma_f16 v92, v107, s20, -v217
	;; [unrolled: 2-line block ×7, first 2 shown]
	v_fma_f16 v151, v99, s27, v151
	v_fma_f16 v99, v99, s25, v206
	v_add_f16_e32 v87, v92, v87
	v_add_f16_e32 v92, v100, v169
	v_add_f16_sdwa v151, v16, v151 dst_sel:DWORD dst_unused:UNUSED_PAD src0_sel:WORD_1 src1_sel:DWORD
	v_add_f16_e32 v133, v16, v133
	v_add_f16_e32 v141, v16, v141
	v_add_f16_sdwa v99, v16, v99 dst_sel:DWORD dst_unused:UNUSED_PAD src0_sel:WORD_1 src1_sel:DWORD
	v_add_f16_sdwa v92, v16, v92 dst_sel:DWORD dst_unused:UNUSED_PAD src0_sel:WORD_1 src1_sel:DWORD
	v_add_f16_e32 v17, v16, v17
	v_add_f16_e32 v17, v17, v78
	;; [unrolled: 1-line block ×11, first 2 shown]
	v_fma_f16 v152, v101, s28, v152
	v_fma_f16 v101, v101, s27, v207
	v_add_f16_e32 v92, v100, v92
	v_add_f16_e32 v100, v109, v179
	;; [unrolled: 1-line block ×4, first 2 shown]
	v_fma_f16 v142, v107, s15, -v235
	v_add_f16_e32 v99, v101, v99
	v_fma_f16 v101, v113, s26, v208
	v_add_f16_e32 v92, v100, v92
	v_add_f16_e32 v100, v117, v184
	;; [unrolled: 1-line block ×4, first 2 shown]
	v_fma_f16 v142, v114, s17, -v236
	v_add_f16_e32 v99, v101, v99
	v_fma_f16 v101, v121, s28, v209
	v_add_f16_e32 v92, v100, v92
	v_add_f16_e32 v100, v126, v189
	;; [unrolled: 1-line block ×4, first 2 shown]
	v_fma_f16 v152, v113, s24, v156
	v_add_f16_e32 v133, v144, v133
	v_fma_f16 v144, v107, s21, -v154
	v_add_f16_e32 v141, v142, v141
	v_fma_f16 v142, v123, s19, -v237
	v_add_f16_e32 v99, v101, v99
	v_fma_f16 v101, v129, s22, v210
	v_add_f16_e32 v92, v100, v92
	v_add_f16_e32 v100, v131, v195
	;; [unrolled: 1-line block ×3, first 2 shown]
	v_mul_f16_e32 v164, 0xbacd, v164
	v_add_f16_e32 v151, v152, v151
	v_fma_f16 v152, v121, s23, v158
	v_add_f16_e32 v133, v144, v133
	v_fma_f16 v144, v114, s15, -v155
	s_waitcnt vmcnt(0)
	v_sub_f16_e32 v84, v89, v84
	buffer_load_dword v89, off, s[40:43], 0 offset:68 ; 4-byte Folded Reload
	v_add_f16_e32 v84, v16, v84
	v_add_f16_e32 v141, v142, v141
	v_fma_f16 v142, v130, s16, -v238
	v_add_f16_e32 v99, v101, v99
	v_fma_f16 v101, v136, s24, v211
	v_add_f16_e32 v92, v100, v92
	v_add_f16_e32 v100, v143, v201
	;; [unrolled: 1-line block ×4, first 2 shown]
	v_fma_f16 v152, v129, s30, v160
	v_add_f16_e32 v133, v144, v133
	v_fma_f16 v144, v123, s18, -v157
	v_add_f16_e32 v141, v142, v141
	v_fma_f16 v142, v137, s14, -v239
	v_add_f16_e32 v99, v101, v99
	v_fma_f16 v101, v148, s37, v212
	v_add_f16_e32 v92, v100, v92
	v_add_f16_e32 v100, v150, v164
	;; [unrolled: 1-line block ×4, first 2 shown]
	v_fma_f16 v152, v136, s35, v162
	v_add_f16_e32 v133, v144, v133
	v_fma_f16 v144, v130, s17, -v159
	v_add_f16_e32 v141, v142, v141
	v_fma_f16 v142, v149, s18, -v240
	v_add_f16_e32 v99, v101, v99
	v_fma_f16 v101, v153, s23, v213
	v_add_f16_e32 v92, v100, v92
	v_add_f16_e32 v151, v152, v151
	v_fma_f16 v152, v148, s33, v165
	v_add_f16_e32 v133, v144, v133
	v_fma_f16 v144, v137, s20, -v161
	v_add_f16_e32 v141, v142, v141
	v_add_f16_e32 v99, v101, v99
	;; [unrolled: 1-line block ×3, first 2 shown]
	v_fma_f16 v152, v153, s36, v197
	v_add_f16_e32 v133, v144, v133
	v_fma_f16 v144, v149, s16, -v163
	v_add_f16_e32 v151, v152, v151
	v_add_f16_e32 v133, v144, v133
	s_mov_b32 s14, 0x5040100
	s_waitcnt vmcnt(0)
	v_sub_f16_e32 v85, v89, v85
	v_add_f16_e32 v84, v85, v84
	buffer_load_dword v85, off, s[40:43], 0 offset:76 ; 4-byte Folded Reload
	s_waitcnt vmcnt(0)
	v_sub_f16_e32 v85, v85, v91
	v_add_f16_e32 v84, v85, v84
	buffer_load_dword v85, off, s[40:43], 0 offset:84 ; 4-byte Folded Reload
	;; [unrolled: 4-line block ×4, first 2 shown]
	s_waitcnt vmcnt(0)
	v_sub_f16_e32 v85, v85, v116
	v_add_f16_e32 v84, v85, v84
	v_sub_f16_e32 v85, v198, v124
	v_add_f16_e32 v84, v85, v84
	;; [unrolled: 2-line block ×3, first 2 shown]
	buffer_load_dword v85, off, s[40:43], 0 offset:24 ; 4-byte Folded Reload
	s_waitcnt vmcnt(0)
	v_add_f16_e32 v81, v81, v85
	buffer_load_dword v85, off, s[40:43], 0 offset:32 ; 4-byte Folded Reload
	v_add_f16_sdwa v81, v16, v81 dst_sel:DWORD dst_unused:UNUSED_PAD src0_sel:WORD_1 src1_sel:DWORD
	s_waitcnt vmcnt(0)
	v_add_f16_e32 v82, v82, v85
	v_add_f16_e32 v81, v82, v81
	buffer_load_dword v82, off, s[40:43], 0 offset:40 ; 4-byte Folded Reload
	s_waitcnt vmcnt(0)
	v_add_f16_e32 v82, v86, v82
	v_add_f16_e32 v81, v82, v81
	buffer_load_dword v82, off, s[40:43], 0 offset:52 ; 4-byte Folded Reload
	;; [unrolled: 4-line block ×6, first 2 shown]
	s_waitcnt vmcnt(0)
	v_add_f16_e32 v82, v125, v82
	v_add_f16_e32 v81, v82, v81
	buffer_load_dword v82, off, s[40:43], 0 ; 4-byte Folded Reload
	s_waitcnt vmcnt(0)
	v_sub_f16_e32 v79, v82, v79
	buffer_load_dword v82, off, s[40:43], 0 offset:8 ; 4-byte Folded Reload
	v_add_f16_e32 v79, v16, v79
	v_add_f16_sdwa v16, v16, v77 dst_sel:DWORD dst_unused:UNUSED_PAD src0_sel:WORD_1 src1_sel:DWORD
	v_add_f16_e32 v16, v16, v70
	v_add_f16_e32 v16, v16, v18
	;; [unrolled: 1-line block ×15, first 2 shown]
	v_mul_u32_u24_e32 v18, 51, v186
	v_add_lshl_u32 v18, v18, v187, 2
	v_pack_b32_f16 v16, v17, v16
	s_waitcnt vmcnt(0)
	v_sub_f16_e32 v80, v82, v80
	v_add_f16_e32 v79, v80, v79
	buffer_load_dword v80, off, s[40:43], 0 offset:12 ; 4-byte Folded Reload
	s_waitcnt vmcnt(0)
	v_sub_f16_e32 v80, v80, v83
	v_add_f16_e32 v79, v80, v79
	buffer_load_dword v80, off, s[40:43], 0 offset:16 ; 4-byte Folded Reload
	;; [unrolled: 4-line block ×6, first 2 shown]
	s_waitcnt vmcnt(0)
	v_sub_f16_e32 v80, v80, v119
	v_add_f16_e32 v79, v80, v79
	v_pack_b32_f16 v17, v79, v81
	ds_write2_b32 v18, v16, v17 offset1:3
	v_pack_b32_f16 v16, v84, v88
	v_pack_b32_f16 v17, v93, v92
	ds_write2_b32 v18, v16, v17 offset0:6 offset1:9
	v_pack_b32_f16 v16, v87, v99
	v_pack_b32_f16 v17, v141, v61
	ds_write2_b32 v18, v16, v17 offset0:12 offset1:15
	;; [unrolled: 3-line block ×5, first 2 shown]
	buffer_load_dword v17, off, s[40:43], 0 offset:4 ; 4-byte Folded Reload
	buffer_load_dword v19, off, s[40:43], 0 offset:48 ; 4-byte Folded Reload
	v_pack_b32_f16 v16, v233, v224
	s_waitcnt vmcnt(0)
	v_pack_b32_f16 v17, v19, v17
	ds_write2_b32 v18, v16, v17 offset0:36 offset1:39
	v_perm_b32 v16, v75, v74, s14
	v_perm_b32 v17, v71, v26, s14
	ds_write2_b32 v18, v16, v17 offset0:42 offset1:45
	v_perm_b32 v16, v73, v72, s14
	ds_write_b32 v18, v16 offset:192
.LBB0_11:
	s_or_b64 exec, exec, s[4:5]
	v_mad_u64_u32 v[28:29], s[2:3], v54, 24, s[2:3]
	s_waitcnt lgkmcnt(0)
	; wave barrier
	s_waitcnt lgkmcnt(0)
	global_load_dwordx4 v[16:19], v[28:29], off offset:192
	global_load_dwordx2 v[23:24], v[28:29], off offset:208
	v_add_u32_e32 v25, 0x400, v43
	ds_read2_b32 v[30:31], v43 offset1:51
	ds_read2_b32 v[33:34], v43 offset0:102 offset1:153
	ds_read2_b32 v[35:36], v43 offset0:204 offset1:255
	v_add_u32_e32 v32, 0x600, v43
	v_add_u32_e32 v27, 0x800, v43
	ds_read2_b32 v[37:38], v25 offset0:50 offset1:101
	ds_read2_b32 v[39:40], v25 offset0:152 offset1:203
	;; [unrolled: 1-line block ×4, first 2 shown]
	s_waitcnt lgkmcnt(5)
	v_lshrrev_b32_e32 v57, 16, v33
	s_waitcnt lgkmcnt(4)
	v_lshrrev_b32_e32 v58, 16, v35
	;; [unrolled: 2-line block ×5, first 2 shown]
	v_lshrrev_b32_e32 v67, 16, v39
	v_lshrrev_b32_e32 v59, 16, v34
	;; [unrolled: 1-line block ×5, first 2 shown]
	s_movk_i32 s2, 0x2b26
	s_movk_i32 s3, 0x3b00
	s_mov_b32 s4, 0xbcab
	s_movk_i32 s5, 0x39e0
	s_mov_b32 s14, 0xb9e0
	;; [unrolled: 2-line block ×3, first 2 shown]
	v_lshrrev_b32_e32 v70, 16, v38
	v_lshrrev_b32_e32 v76, 16, v40
	s_movk_i32 s17, 0x370e
	s_waitcnt lgkmcnt(0)
	; wave barrier
	s_waitcnt vmcnt(1)
	v_mul_f16_sdwa v79, v57, v16 dst_sel:DWORD dst_unused:UNUSED_PAD src0_sel:DWORD src1_sel:WORD_1
	v_mul_f16_sdwa v80, v33, v16 dst_sel:DWORD dst_unused:UNUSED_PAD src0_sel:DWORD src1_sel:WORD_1
	;; [unrolled: 1-line block ×4, first 2 shown]
	s_waitcnt vmcnt(0)
	v_mul_f16_sdwa v87, v68, v23 dst_sel:DWORD dst_unused:UNUSED_PAD src0_sel:DWORD src1_sel:WORD_1
	v_mul_f16_sdwa v88, v41, v23 dst_sel:DWORD dst_unused:UNUSED_PAD src0_sel:DWORD src1_sel:WORD_1
	;; [unrolled: 1-line block ×8, first 2 shown]
	v_fma_f16 v33, v33, v16, -v79
	v_fma_f16 v57, v57, v16, v80
	v_fma_f16 v35, v35, v17, -v81
	v_fma_f16 v58, v58, v17, v82
	;; [unrolled: 2-line block ×6, first 2 shown]
	v_add_f16_e32 v79, v33, v64
	v_add_f16_e32 v80, v57, v69
	v_sub_f16_e32 v33, v33, v64
	v_sub_f16_e32 v57, v57, v69
	v_add_f16_e32 v64, v35, v41
	v_add_f16_e32 v69, v58, v68
	v_sub_f16_e32 v35, v35, v41
	v_sub_f16_e32 v41, v58, v68
	;; [unrolled: 4-line block ×4, first 2 shown]
	v_sub_f16_e32 v79, v79, v58
	v_sub_f16_e32 v80, v80, v68
	;; [unrolled: 1-line block ×4, first 2 shown]
	v_add_f16_e32 v83, v37, v35
	v_add_f16_e32 v84, v39, v41
	v_sub_f16_e32 v85, v37, v35
	v_sub_f16_e32 v86, v39, v41
	;; [unrolled: 1-line block ×4, first 2 shown]
	v_add_f16_e32 v58, v58, v66
	v_add_f16_e32 v66, v68, v67
	v_sub_f16_e32 v37, v33, v37
	v_sub_f16_e32 v39, v57, v39
	v_add_f16_e32 v33, v83, v33
	v_add_f16_e32 v57, v84, v57
	;; [unrolled: 1-line block ×3, first 2 shown]
	v_add_f16_sdwa v30, v30, v66 dst_sel:DWORD dst_unused:UNUSED_PAD src0_sel:WORD_1 src1_sel:DWORD
	v_mul_f16_e32 v68, 0x3a52, v79
	v_mul_f16_e32 v79, 0x3a52, v80
	;; [unrolled: 1-line block ×8, first 2 shown]
	v_mul_f16_sdwa v91, v59, v16 dst_sel:DWORD dst_unused:UNUSED_PAD src0_sel:DWORD src1_sel:WORD_1
	v_mul_f16_sdwa v92, v34, v16 dst_sel:DWORD dst_unused:UNUSED_PAD src0_sel:DWORD src1_sel:WORD_1
	;; [unrolled: 1-line block ×8, first 2 shown]
	v_fma_f16 v58, v58, s4, v67
	v_fma_f16 v66, v66, s4, v30
	;; [unrolled: 1-line block ×4, first 2 shown]
	v_fma_f16 v80, v81, s5, -v80
	v_fma_f16 v83, v82, s5, -v83
	;; [unrolled: 1-line block ×4, first 2 shown]
	v_fma_f16 v81, v37, s15, v84
	v_fma_f16 v82, v39, s15, v85
	v_fma_f16 v35, v35, s3, -v84
	v_fma_f16 v37, v37, s16, -v86
	;; [unrolled: 1-line block ×3, first 2 shown]
	v_mul_f16_sdwa v95, v70, v18 dst_sel:DWORD dst_unused:UNUSED_PAD src0_sel:DWORD src1_sel:WORD_1
	v_mul_f16_sdwa v96, v38, v18 dst_sel:DWORD dst_unused:UNUSED_PAD src0_sel:DWORD src1_sel:WORD_1
	;; [unrolled: 1-line block ×4, first 2 shown]
	v_fma_f16 v34, v34, v16, -v91
	v_fma_f16 v59, v59, v16, v92
	v_fma_f16 v36, v36, v17, -v93
	v_fma_f16 v61, v61, v17, v94
	;; [unrolled: 2-line block ×4, first 2 shown]
	v_fma_f16 v41, v41, s3, -v85
	v_add_f16_e32 v64, v64, v58
	v_add_f16_e32 v69, v69, v66
	;; [unrolled: 1-line block ×6, first 2 shown]
	v_fma_f16 v68, v33, s17, v81
	v_fma_f16 v79, v57, s17, v82
	;; [unrolled: 1-line block ×5, first 2 shown]
	v_fma_f16 v38, v38, v18, -v95
	v_fma_f16 v70, v70, v18, v96
	v_fma_f16 v40, v40, v19, -v97
	v_fma_f16 v76, v76, v19, v98
	v_fma_f16 v41, v57, s17, v41
	v_add_f16_e32 v39, v79, v64
	v_sub_f16_e32 v57, v69, v68
	v_add_f16_e32 v81, v37, v58
	v_sub_f16_e32 v82, v66, v33
	v_sub_f16_e32 v37, v58, v37
	v_add_f16_e32 v33, v33, v66
	v_sub_f16_e32 v58, v64, v79
	v_add_f16_e32 v64, v68, v69
	v_add_f16_e32 v66, v34, v65
	;; [unrolled: 1-line block ×3, first 2 shown]
	v_sub_f16_e32 v34, v34, v65
	v_add_f16_e32 v65, v36, v42
	v_add_f16_e32 v69, v61, v77
	v_sub_f16_e32 v59, v59, v78
	v_sub_f16_e32 v36, v36, v42
	;; [unrolled: 1-line block ×3, first 2 shown]
	v_add_f16_e32 v61, v38, v40
	v_add_f16_e32 v77, v70, v76
	v_sub_f16_e32 v38, v40, v38
	v_sub_f16_e32 v40, v76, v70
	v_add_f16_e32 v70, v65, v66
	v_add_f16_e32 v76, v69, v68
	v_sub_f16_e32 v84, v80, v41
	v_add_f16_e32 v85, v35, v83
	v_add_f16_e32 v41, v41, v80
	v_sub_f16_e32 v35, v83, v35
	v_sub_f16_e32 v78, v65, v66
	;; [unrolled: 1-line block ×7, first 2 shown]
	v_add_f16_e32 v80, v38, v36
	v_add_f16_e32 v83, v40, v42
	v_sub_f16_e32 v86, v38, v36
	v_sub_f16_e32 v87, v40, v42
	;; [unrolled: 1-line block ×4, first 2 shown]
	v_add_f16_e32 v61, v61, v70
	v_add_f16_e32 v70, v77, v76
	v_sub_f16_e32 v38, v34, v38
	v_sub_f16_e32 v40, v59, v40
	v_add_f16_e32 v34, v80, v34
	v_add_f16_e32 v59, v83, v59
	v_add_f16_e32 v76, v31, v61
	v_add_f16_sdwa v31, v31, v70 dst_sel:DWORD dst_unused:UNUSED_PAD src0_sel:WORD_1 src1_sel:DWORD
	v_mul_f16_e32 v66, 0x3a52, v66
	v_mul_f16_e32 v68, 0x3a52, v68
	;; [unrolled: 1-line block ×8, first 2 shown]
	v_pack_b32_f16 v30, v67, v30
	v_pack_b32_f16 v39, v39, v57
	v_fma_f16 v61, v61, s4, v76
	v_fma_f16 v70, v70, s4, v31
	;; [unrolled: 1-line block ×4, first 2 shown]
	v_fma_f16 v77, v78, s5, -v77
	v_fma_f16 v80, v79, s5, -v80
	;; [unrolled: 1-line block ×4, first 2 shown]
	v_fma_f16 v78, v38, s15, v83
	v_fma_f16 v79, v40, s15, v86
	v_fma_f16 v36, v36, s3, -v83
	v_fma_f16 v38, v38, s16, -v87
	;; [unrolled: 1-line block ×3, first 2 shown]
	ds_write2_b32 v43, v30, v39 offset1:51
	v_pack_b32_f16 v30, v81, v82
	v_pack_b32_f16 v39, v84, v85
	v_fma_f16 v42, v42, s3, -v86
	v_add_f16_e32 v65, v65, v61
	v_add_f16_e32 v69, v69, v70
	;; [unrolled: 1-line block ×6, first 2 shown]
	v_fma_f16 v68, v34, s17, v78
	v_fma_f16 v70, v59, s17, v79
	;; [unrolled: 1-line block ×5, first 2 shown]
	ds_write2_b32 v43, v30, v39 offset0:102 offset1:153
	v_pack_b32_f16 v30, v41, v35
	v_pack_b32_f16 v33, v37, v33
	v_fma_f16 v42, v59, s17, v42
	v_add_f16_e32 v40, v70, v65
	v_sub_f16_e32 v59, v69, v68
	v_add_f16_e32 v78, v38, v61
	v_sub_f16_e32 v79, v66, v34
	ds_write2_b32 v43, v30, v33 offset0:204 offset1:255
	v_pack_b32_f16 v30, v58, v64
	v_pack_b32_f16 v31, v76, v31
	v_sub_f16_e32 v83, v77, v42
	v_add_f16_e32 v86, v36, v80
	v_add_f16_e32 v42, v42, v77
	v_sub_f16_e32 v36, v80, v36
	ds_write2_b32 v25, v30, v31 offset0:50 offset1:101
	v_pack_b32_f16 v30, v40, v59
	v_pack_b32_f16 v31, v78, v79
	v_sub_f16_e32 v38, v61, v38
	v_add_f16_e32 v34, v34, v66
	v_sub_f16_e32 v61, v65, v70
	v_add_f16_e32 v65, v68, v69
	ds_write2_b32 v25, v30, v31 offset0:152 offset1:203
	v_pack_b32_f16 v30, v83, v86
	v_pack_b32_f16 v31, v42, v36
	ds_write2_b32 v32, v30, v31 offset0:126 offset1:177
	v_pack_b32_f16 v30, v38, v34
	v_pack_b32_f16 v31, v61, v65
	ds_write2_b32 v27, v30, v31 offset0:100 offset1:151
	v_mul_i32_i24_e32 v31, 0xffffffec, v54
	v_mul_hi_i32_i24_e32 v30, 0xffffffec, v54
	v_add_co_u32_e64 v28, s[2:3], v28, v31
	v_addc_co_u32_e64 v29, s[2:3], v29, v30, s[2:3]
	s_waitcnt lgkmcnt(0)
	; wave barrier
	s_waitcnt lgkmcnt(0)
	global_load_dword v64, v[28:29], off offset:1416
	global_load_dword v65, v[28:29], off offset:1620
	;; [unrolled: 1-line block ×7, first 2 shown]
	ds_read2_b32 v[28:29], v43 offset1:51
	ds_read2_b32 v[30:31], v25 offset0:50 offset1:101
	ds_read2_b32 v[33:34], v25 offset0:152 offset1:203
	;; [unrolled: 1-line block ×6, first 2 shown]
	s_waitcnt lgkmcnt(5)
	v_lshrrev_b32_e32 v58, 16, v31
	s_waitcnt lgkmcnt(4)
	v_lshrrev_b32_e32 v61, 16, v33
	v_lshrrev_b32_e32 v77, 16, v34
	s_waitcnt lgkmcnt(2)
	v_lshrrev_b32_e32 v79, 16, v37
	;; [unrolled: 3-line block ×3, first 2 shown]
	v_lshrrev_b32_e32 v85, 16, v42
	v_lshrrev_b32_e32 v57, 16, v28
	;; [unrolled: 1-line block ×8, first 2 shown]
	s_add_u32 s2, s12, 0xb28
	s_addc_u32 s3, s13, 0
	s_waitcnt vmcnt(6)
	v_mul_f16_sdwa v86, v58, v64 dst_sel:DWORD dst_unused:UNUSED_PAD src0_sel:DWORD src1_sel:WORD_1
	v_fma_f16 v86, v31, v64, -v86
	v_mul_f16_sdwa v31, v31, v64 dst_sel:DWORD dst_unused:UNUSED_PAD src0_sel:DWORD src1_sel:WORD_1
	v_fma_f16 v31, v58, v64, v31
	s_waitcnt vmcnt(5)
	v_mul_f16_sdwa v58, v61, v65 dst_sel:DWORD dst_unused:UNUSED_PAD src0_sel:DWORD src1_sel:WORD_1
	v_fma_f16 v58, v33, v65, -v58
	v_mul_f16_sdwa v33, v33, v65 dst_sel:DWORD dst_unused:UNUSED_PAD src0_sel:DWORD src1_sel:WORD_1
	v_fma_f16 v33, v61, v65, v33
	;; [unrolled: 5-line block ×7, first 2 shown]
	v_sub_f16_e32 v85, v28, v86
	v_sub_f16_e32 v31, v57, v31
	;; [unrolled: 1-line block ×4, first 2 shown]
	v_fma_f16 v86, v28, 2.0, -v85
	v_fma_f16 v57, v57, 2.0, -v31
	;; [unrolled: 1-line block ×4, first 2 shown]
	v_sub_f16_e32 v29, v30, v83
	v_pack_b32_f16 v31, v85, v31
	v_sub_f16_e32 v61, v35, v61
	v_sub_f16_e32 v34, v76, v34
	;; [unrolled: 1-line block ×4, first 2 shown]
	v_fma_f16 v28, v30, 2.0, -v29
	v_pack_b32_f16 v30, v86, v57
	ds_write_b32 v43, v31 offset:1428
	v_pack_b32_f16 v31, v87, v59
	v_fma_f16 v35, v35, 2.0, -v61
	v_fma_f16 v88, v76, 2.0, -v34
	;; [unrolled: 1-line block ×4, first 2 shown]
	ds_write2_b32 v43, v30, v31 offset1:51
	v_pack_b32_f16 v30, v58, v33
	v_pack_b32_f16 v33, v61, v34
	v_sub_f16_e32 v79, v39, v79
	v_sub_f16_e32 v38, v80, v38
	;; [unrolled: 1-line block ×4, first 2 shown]
	v_pack_b32_f16 v31, v35, v88
	ds_write2_b32 v25, v30, v33 offset0:152 offset1:203
	v_pack_b32_f16 v30, v36, v78
	v_fma_f16 v39, v39, 2.0, -v79
	v_fma_f16 v80, v80, 2.0, -v38
	;; [unrolled: 1-line block ×4, first 2 shown]
	v_sub_f16_e32 v76, v84, v42
	ds_write2_b32 v43, v31, v30 offset0:102 offset1:153
	v_pack_b32_f16 v30, v89, v37
	v_pack_b32_f16 v33, v79, v38
	v_fma_f16 v77, v84, 2.0, -v76
	v_pack_b32_f16 v31, v39, v80
	ds_write2_b32 v32, v30, v33 offset0:126 offset1:177
	v_pack_b32_f16 v30, v40, v82
	ds_write2_b32 v43, v31, v30 offset0:204 offset1:255
	v_pack_b32_f16 v31, v28, v77
	v_pack_b32_f16 v30, v81, v41
	ds_write_b32 v43, v31 offset:1224
	v_pack_b32_f16 v31, v29, v76
	ds_write2_b32 v27, v30, v31 offset0:100 offset1:151
	s_waitcnt lgkmcnt(0)
	; wave barrier
	s_waitcnt lgkmcnt(0)
	global_load_dword v33, v[20:21], off offset:2856
	global_load_dword v38, v43, s[2:3] offset:952
	global_load_dword v39, v43, s[2:3] offset:1904
	;; [unrolled: 1-line block ×11, first 2 shown]
	ds_read2_b32 v[30:31], v43 offset1:51
	s_waitcnt lgkmcnt(0)
	v_lshrrev_b32_e32 v34, 16, v30
	s_waitcnt vmcnt(11)
	v_mul_f16_sdwa v35, v34, v33 dst_sel:DWORD dst_unused:UNUSED_PAD src0_sel:DWORD src1_sel:WORD_1
	v_fma_f16 v35, v30, v33, -v35
	v_mul_f16_sdwa v30, v30, v33 dst_sel:DWORD dst_unused:UNUSED_PAD src0_sel:DWORD src1_sel:WORD_1
	v_fma_f16 v30, v34, v33, v30
	v_pack_b32_f16 v30, v35, v30
	ds_write_b32 v43, v30
	v_add_u32_e32 v33, 0x200, v43
	ds_read2_b32 v[34:35], v33 offset0:110 offset1:161
	ds_read2_b32 v[36:37], v32 offset0:92 offset1:143
	s_waitcnt lgkmcnt(1)
	v_lshrrev_b32_e32 v30, 16, v34
	s_waitcnt vmcnt(10)
	v_mul_f16_sdwa v80, v30, v38 dst_sel:DWORD dst_unused:UNUSED_PAD src0_sel:DWORD src1_sel:WORD_1
	v_fma_f16 v80, v34, v38, -v80
	v_mul_f16_sdwa v34, v34, v38 dst_sel:DWORD dst_unused:UNUSED_PAD src0_sel:DWORD src1_sel:WORD_1
	v_fma_f16 v30, v30, v38, v34
	v_pack_b32_f16 v38, v80, v30
	s_waitcnt lgkmcnt(0)
	v_lshrrev_b32_e32 v30, 16, v36
	s_waitcnt vmcnt(9)
	v_mul_f16_sdwa v34, v30, v39 dst_sel:DWORD dst_unused:UNUSED_PAD src0_sel:DWORD src1_sel:WORD_1
	v_fma_f16 v34, v36, v39, -v34
	v_mul_f16_sdwa v36, v36, v39 dst_sel:DWORD dst_unused:UNUSED_PAD src0_sel:DWORD src1_sel:WORD_1
	v_fma_f16 v30, v30, v39, v36
	v_pack_b32_f16 v39, v34, v30
	v_lshrrev_b32_e32 v30, 16, v31
	s_waitcnt vmcnt(8)
	v_mul_f16_sdwa v34, v30, v40 dst_sel:DWORD dst_unused:UNUSED_PAD src0_sel:DWORD src1_sel:WORD_1
	v_fma_f16 v34, v31, v40, -v34
	v_mul_f16_sdwa v31, v31, v40 dst_sel:DWORD dst_unused:UNUSED_PAD src0_sel:DWORD src1_sel:WORD_1
	v_fma_f16 v30, v30, v40, v31
	v_pack_b32_f16 v36, v34, v30
	v_lshrrev_b32_e32 v30, 16, v35
	s_waitcnt vmcnt(7)
	v_mul_f16_sdwa v31, v30, v41 dst_sel:DWORD dst_unused:UNUSED_PAD src0_sel:DWORD src1_sel:WORD_1
	v_mul_f16_sdwa v34, v35, v41 dst_sel:DWORD dst_unused:UNUSED_PAD src0_sel:DWORD src1_sel:WORD_1
	v_fma_f16 v31, v35, v41, -v31
	v_fma_f16 v30, v30, v41, v34
	v_pack_b32_f16 v40, v31, v30
	ds_read2_b32 v[30:31], v43 offset0:102 offset1:153
	v_lshrrev_b32_e32 v34, 16, v37
	s_waitcnt vmcnt(6)
	v_mul_f16_sdwa v35, v34, v42 dst_sel:DWORD dst_unused:UNUSED_PAD src0_sel:DWORD src1_sel:WORD_1
	v_fma_f16 v35, v37, v42, -v35
	v_mul_f16_sdwa v37, v37, v42 dst_sel:DWORD dst_unused:UNUSED_PAD src0_sel:DWORD src1_sel:WORD_1
	v_fma_f16 v34, v34, v42, v37
	s_waitcnt lgkmcnt(0)
	v_lshrrev_b32_e32 v37, 16, v30
	v_pack_b32_f16 v41, v35, v34
	s_waitcnt vmcnt(5)
	v_mul_f16_sdwa v34, v37, v57 dst_sel:DWORD dst_unused:UNUSED_PAD src0_sel:DWORD src1_sel:WORD_1
	v_fma_f16 v42, v30, v57, -v34
	ds_read2_b32 v[34:35], v25 offset0:84 offset1:135
	v_mul_f16_sdwa v30, v30, v57 dst_sel:DWORD dst_unused:UNUSED_PAD src0_sel:DWORD src1_sel:WORD_1
	v_fma_f16 v30, v37, v57, v30
	v_pack_b32_f16 v30, v42, v30
	ds_write2_b32 v43, v36, v30 offset0:51 offset1:102
	s_waitcnt lgkmcnt(1)
	v_lshrrev_b32_e32 v30, 16, v34
	s_waitcnt vmcnt(4)
	v_mul_f16_sdwa v36, v30, v58 dst_sel:DWORD dst_unused:UNUSED_PAD src0_sel:DWORD src1_sel:WORD_1
	v_fma_f16 v42, v34, v58, -v36
	ds_read2_b32 v[36:37], v27 offset0:66 offset1:117
	v_mul_f16_sdwa v34, v34, v58 dst_sel:DWORD dst_unused:UNUSED_PAD src0_sel:DWORD src1_sel:WORD_1
	v_fma_f16 v30, v30, v58, v34
	v_pack_b32_f16 v30, v42, v30
	ds_write2_b32 v25, v40, v30 offset0:33 offset1:84
	s_waitcnt lgkmcnt(1)
	v_lshrrev_b32_e32 v30, 16, v36
	s_waitcnt vmcnt(3)
	v_mul_f16_sdwa v34, v30, v59 dst_sel:DWORD dst_unused:UNUSED_PAD src0_sel:DWORD src1_sel:WORD_1
	v_fma_f16 v34, v36, v59, -v34
	v_mul_f16_sdwa v36, v36, v59 dst_sel:DWORD dst_unused:UNUSED_PAD src0_sel:DWORD src1_sel:WORD_1
	v_fma_f16 v30, v30, v59, v36
	v_pack_b32_f16 v30, v34, v30
	ds_write2_b32 v27, v41, v30 offset0:15 offset1:66
	v_lshrrev_b32_e32 v30, 16, v31
	s_waitcnt vmcnt(1)
	v_mul_f16_sdwa v34, v30, v78 dst_sel:DWORD dst_unused:UNUSED_PAD src0_sel:DWORD src1_sel:WORD_1
	v_fma_f16 v34, v31, v78, -v34
	v_mul_f16_sdwa v31, v31, v78 dst_sel:DWORD dst_unused:UNUSED_PAD src0_sel:DWORD src1_sel:WORD_1
	v_fma_f16 v30, v30, v78, v31
	v_pack_b32_f16 v30, v34, v30
	ds_write2_b32 v43, v30, v38 offset0:153 offset1:238
	v_lshrrev_b32_e32 v30, 16, v35
	v_mul_f16_sdwa v31, v30, v61 dst_sel:DWORD dst_unused:UNUSED_PAD src0_sel:DWORD src1_sel:WORD_1
	v_mul_f16_sdwa v34, v35, v61 dst_sel:DWORD dst_unused:UNUSED_PAD src0_sel:DWORD src1_sel:WORD_1
	v_fma_f16 v31, v35, v61, -v31
	v_fma_f16 v30, v30, v61, v34
	v_pack_b32_f16 v30, v31, v30
	ds_write2_b32 v25, v30, v39 offset0:135 offset1:220
	v_lshrrev_b32_e32 v30, 16, v37
	s_waitcnt vmcnt(0)
	v_mul_f16_sdwa v31, v30, v79 dst_sel:DWORD dst_unused:UNUSED_PAD src0_sel:DWORD src1_sel:WORD_1
	v_mul_f16_sdwa v34, v37, v79 dst_sel:DWORD dst_unused:UNUSED_PAD src0_sel:DWORD src1_sel:WORD_1
	v_fma_f16 v31, v37, v79, -v31
	v_fma_f16 v30, v30, v79, v34
	v_pack_b32_f16 v30, v31, v30
	ds_write_b32 v43, v30 offset:2516
	s_and_saveexec_b64 s[4:5], s[0:1]
	s_cbranch_execz .LBB0_13
; %bb.12:
	v_mov_b32_e32 v31, s3
	v_add_co_u32_e64 v30, s[2:3], s2, v43
	v_addc_co_u32_e64 v31, s[2:3], 0, v31, s[2:3]
	global_load_dword v34, v[30:31], off offset:816
	global_load_dword v35, v[30:31], off offset:1768
	;; [unrolled: 1-line block ×3, first 2 shown]
	v_add_u32_e32 v37, 0x300, v43
	ds_read_b32 v38, v43 offset:2720
	ds_read2_b32 v[30:31], v37 offset0:12 offset1:250
	s_waitcnt lgkmcnt(1)
	v_lshrrev_b32_e32 v39, 16, v38
	s_waitcnt lgkmcnt(0)
	v_lshrrev_b32_e32 v40, 16, v30
	v_lshrrev_b32_e32 v41, 16, v31
	s_waitcnt vmcnt(2)
	v_mul_f16_sdwa v42, v40, v34 dst_sel:DWORD dst_unused:UNUSED_PAD src0_sel:DWORD src1_sel:WORD_1
	v_mul_f16_sdwa v57, v30, v34 dst_sel:DWORD dst_unused:UNUSED_PAD src0_sel:DWORD src1_sel:WORD_1
	s_waitcnt vmcnt(1)
	v_mul_f16_sdwa v58, v41, v35 dst_sel:DWORD dst_unused:UNUSED_PAD src0_sel:DWORD src1_sel:WORD_1
	v_mul_f16_sdwa v59, v31, v35 dst_sel:DWORD dst_unused:UNUSED_PAD src0_sel:DWORD src1_sel:WORD_1
	;; [unrolled: 3-line block ×3, first 2 shown]
	v_fma_f16 v30, v30, v34, -v42
	v_fma_f16 v34, v40, v34, v57
	v_fma_f16 v31, v31, v35, -v58
	v_fma_f16 v35, v41, v35, v59
	;; [unrolled: 2-line block ×3, first 2 shown]
	v_pack_b32_f16 v30, v30, v34
	v_pack_b32_f16 v31, v31, v35
	;; [unrolled: 1-line block ×3, first 2 shown]
	ds_write2_b32 v37, v30, v31 offset0:12 offset1:250
	ds_write_b32 v43, v34 offset:2720
.LBB0_13:
	s_or_b64 exec, exec, s[4:5]
	s_waitcnt lgkmcnt(0)
	; wave barrier
	s_waitcnt lgkmcnt(0)
	ds_read2_b32 v[30:31], v43 offset1:51
	ds_read2_b32 v[39:40], v33 offset0:110 offset1:161
	ds_read2_b32 v[41:42], v32 offset0:92 offset1:143
	;; [unrolled: 1-line block ×5, first 2 shown]
	s_and_saveexec_b64 s[2:3], s[0:1]
	s_cbranch_execz .LBB0_15
; %bb.14:
	v_add_u32_e32 v25, 0x300, v43
	ds_read2_b32 v[28:29], v25 offset0:12 offset1:250
	ds_read_b32 v74, v43 offset:2720
	s_waitcnt lgkmcnt(1)
	v_lshrrev_b32_e32 v77, 16, v28
	v_lshrrev_b32_e32 v76, 16, v29
	s_waitcnt lgkmcnt(0)
	v_lshrrev_b32_e32 v75, 16, v74
.LBB0_15:
	s_or_b64 exec, exec, s[2:3]
	s_waitcnt lgkmcnt(4)
	v_pk_add_f16 v25, v30, v39
	s_waitcnt lgkmcnt(3)
	v_pk_add_f16 v27, v25, v41
	v_pk_add_f16 v25, v39, v41
	v_pk_fma_f16 v57, v25, 0.5, v30 op_sel_hi:[1,0,1] neg_lo:[1,0,0] neg_hi:[1,0,0]
	v_pk_add_f16 v25, v39, v41 neg_lo:[0,1] neg_hi:[0,1]
	s_movk_i32 s2, 0x3aee
	v_pk_mul_f16 v39, v25, s2 op_sel_hi:[1,0]
	v_pk_add_f16 v25, v31, v40
	v_pk_add_f16 v34, v25, v42
	;; [unrolled: 1-line block ×3, first 2 shown]
	v_pk_fma_f16 v58, v25, 0.5, v31 op_sel_hi:[1,0,1] neg_lo:[1,0,0] neg_hi:[1,0,0]
	v_pk_add_f16 v25, v40, v42 neg_lo:[0,1] neg_hi:[0,1]
	v_pk_mul_f16 v40, v25, s2 op_sel_hi:[1,0]
	s_waitcnt lgkmcnt(1)
	v_pk_add_f16 v25, v32, v35
	s_waitcnt lgkmcnt(0)
	v_pk_add_f16 v31, v25, v37
	v_pk_add_f16 v25, v35, v37
	v_pk_fma_f16 v32, v25, 0.5, v32 op_sel_hi:[1,0,1] neg_lo:[1,0,0] neg_hi:[1,0,0]
	v_pk_add_f16 v25, v35, v37 neg_lo:[0,1] neg_hi:[0,1]
	v_pk_mul_f16 v37, v25, s2 op_sel_hi:[1,0]
	v_pk_add_f16 v25, v33, v36
	v_pk_add_f16 v30, v25, v38
	;; [unrolled: 1-line block ×3, first 2 shown]
	v_pk_fma_f16 v42, v25, 0.5, v33 op_sel_hi:[1,0,1] neg_lo:[1,0,0] neg_hi:[1,0,0]
	v_pk_add_f16 v25, v36, v38 neg_lo:[0,1] neg_hi:[0,1]
	v_pk_mul_f16 v59, v25, s2 op_sel_hi:[1,0]
	v_add_f16_e32 v25, v29, v28
	v_add_f16_e32 v35, v74, v25
	v_add_f16_e32 v25, v74, v29
	v_fma_f16 v25, v25, -0.5, v28
	v_sub_f16_e32 v28, v76, v75
	s_mov_b32 s3, 0xbaee
	v_fma_f16 v36, v28, s3, v25
	v_fma_f16 v25, v28, s2, v25
	v_add_f16_e32 v28, v76, v77
	v_add_f16_e32 v80, v75, v28
	;; [unrolled: 1-line block ×3, first 2 shown]
	v_fma_f16 v28, v28, -0.5, v77
	v_sub_f16_e32 v29, v29, v74
	v_pk_add_f16 v41, v57, v39 op_sel:[0,1] op_sel_hi:[1,0] neg_lo:[0,1] neg_hi:[0,1]
	v_fma_f16 v74, v29, s2, v28
	v_pk_add_f16 v33, v57, v39 op_sel:[0,1] op_sel_hi:[1,0]
	s_mov_b32 s2, 0xffff
	v_pk_add_f16 v78, v58, v40 op_sel:[0,1] op_sel_hi:[1,0] neg_lo:[0,1] neg_hi:[0,1]
	v_fma_f16 v77, v29, s3, v28
	v_bfi_b32 v28, s2, v33, v41
	v_bfi_b32 v29, s2, v41, v33
	v_pk_add_f16 v38, v58, v40 op_sel:[0,1] op_sel_hi:[1,0]
	s_waitcnt lgkmcnt(0)
	; wave barrier
	ds_write_b32 v192, v27
	ds_write2_b32 v192, v29, v28 offset0:1 offset1:2
	ds_write_b32 v60, v34
	v_bfi_b32 v28, s2, v38, v78
	v_bfi_b32 v29, s2, v78, v38
	v_pk_add_f16 v84, v32, v37 op_sel:[0,1] op_sel_hi:[1,0] neg_lo:[0,1] neg_hi:[0,1]
	ds_write2_b32 v60, v29, v28 offset0:1 offset1:2
	ds_write_b32 v62, v31
	v_pk_add_f16 v29, v32, v37 op_sel:[0,1] op_sel_hi:[1,0]
	v_pk_add_f16 v79, v42, v59 op_sel:[0,1] op_sel_hi:[1,0] neg_lo:[0,1] neg_hi:[0,1]
	v_bfi_b32 v28, s2, v29, v84
	v_bfi_b32 v32, s2, v84, v29
	v_pk_add_f16 v40, v42, v59 op_sel:[0,1] op_sel_hi:[1,0]
	ds_write2_b32 v62, v32, v28 offset0:1 offset1:2
	ds_write_b32 v63, v30
	v_bfi_b32 v28, s2, v40, v79
	v_bfi_b32 v32, s2, v79, v40
	ds_write2_b32 v63, v32, v28 offset0:1 offset1:2
	s_and_saveexec_b64 s[2:3], s[0:1]
	s_cbranch_execz .LBB0_17
; %bb.16:
	s_mov_b32 s4, 0x5040100
	v_lshlrev_b32_e32 v28, 2, v202
	v_perm_b32 v32, v74, v36, s4
	v_perm_b32 v37, v80, v35, s4
	ds_write2_b32 v28, v37, v32 offset1:1
	v_perm_b32 v32, v77, v25, s4
	ds_write_b32 v28, v32 offset:8
.LBB0_17:
	s_or_b64 exec, exec, s[2:3]
	v_lshrrev_b32_e32 v61, 16, v38
	v_lshrrev_b32_e32 v75, 16, v29
	;; [unrolled: 1-line block ×4, first 2 shown]
	s_waitcnt lgkmcnt(0)
	; wave barrier
	s_waitcnt lgkmcnt(0)
	s_and_saveexec_b64 s[2:3], vcc
	s_cbranch_execz .LBB0_19
; %bb.18:
	v_add_u32_e32 v25, 0x200, v43
	ds_read2_b32 v[27:28], v43 offset1:42
	ds_read2_b32 v[37:38], v43 offset0:168 offset1:210
	ds_read2_b32 v[31:32], v25 offset0:124 offset1:166
	;; [unrolled: 1-line block ×3, first 2 shown]
	v_add_u32_e32 v25, 0x400, v43
	ds_read2_b32 v[29:30], v25 offset0:80 offset1:122
	ds_read2_b32 v[39:40], v25 offset0:164 offset1:206
	v_add_u32_e32 v25, 0x600, v43
	ds_read2_b32 v[35:36], v25 offset0:120 offset1:162
	v_add_u32_e32 v25, 0x800, v43
	ds_read2_b32 v[25:26], v25 offset0:76 offset1:118
	ds_read_b32 v72, v43 offset:2688
	s_mov_b32 s4, 0xffff
	s_waitcnt lgkmcnt(8)
	v_lshrrev_b32_e32 v42, 16, v28
	s_waitcnt lgkmcnt(7)
	v_lshrrev_b32_e32 v61, 16, v37
	s_waitcnt lgkmcnt(6)
	v_lshrrev_b32_e32 v75, 16, v32
	s_waitcnt lgkmcnt(3)
	v_lshrrev_b32_e32 v86, 16, v39
	s_waitcnt lgkmcnt(2)
	v_lshrrev_b32_e32 v80, 16, v35
	v_lshrrev_b32_e32 v74, 16, v36
	s_waitcnt lgkmcnt(1)
	v_lshrrev_b32_e32 v77, 16, v25
	v_lshrrev_b32_e32 v71, 16, v26
	s_waitcnt lgkmcnt(0)
	v_lshrrev_b32_e32 v73, 16, v72
	v_bfi_b32 v79, s4, v39, v40
	v_bfi_b32 v84, s4, v32, v29
	;; [unrolled: 1-line block ×4, first 2 shown]
.LBB0_19:
	s_or_b64 exec, exec, s[2:3]
	s_waitcnt lgkmcnt(0)
	; wave barrier
	s_and_saveexec_b64 s[2:3], vcc
	s_cbranch_execz .LBB0_21
; %bb.20:
	v_mul_f16_sdwa v28, v8, v42 dst_sel:DWORD dst_unused:UNUSED_PAD src0_sel:WORD_1 src1_sel:DWORD
	v_fma_f16 v39, v8, v41, v28
	v_mul_f16_sdwa v28, v15, v73 dst_sel:DWORD dst_unused:UNUSED_PAD src0_sel:WORD_1 src1_sel:DWORD
	v_mul_f16_sdwa v37, v15, v72 dst_sel:DWORD dst_unused:UNUSED_PAD src0_sel:WORD_1 src1_sel:DWORD
	v_fma_f16 v32, v15, v72, v28
	v_fma_f16 v15, v15, v73, -v37
	v_mul_f16_sdwa v37, v8, v41 dst_sel:DWORD dst_unused:UNUSED_PAD src0_sel:WORD_1 src1_sel:DWORD
	v_sub_f16_e32 v28, v39, v32
	v_fma_f16 v37, v8, v42, -v37
	v_mul_f16_e32 v57, 0xbbf7, v28
	v_add_f16_e32 v72, v15, v37
	s_movk_i32 s4, 0x2de8
	v_fma_f16 v8, v72, s4, v57
	v_lshrrev_b32_e32 v59, 16, v41
	v_add_f16_sdwa v58, v27, v8 dst_sel:DWORD dst_unused:UNUSED_PAD src0_sel:WORD_1 src1_sel:DWORD
	v_mul_f16_sdwa v8, v9, v59 dst_sel:DWORD dst_unused:UNUSED_PAD src0_sel:WORD_1 src1_sel:DWORD
	v_fma_f16 v42, v9, v33, v8
	v_mul_f16_sdwa v8, v14, v71 dst_sel:DWORD dst_unused:UNUSED_PAD src0_sel:WORD_1 src1_sel:DWORD
	v_fma_f16 v41, v14, v26, v8
	v_mul_f16_sdwa v26, v14, v26 dst_sel:DWORD dst_unused:UNUSED_PAD src0_sel:WORD_1 src1_sel:DWORD
	v_fma_f16 v14, v14, v71, -v26
	v_mul_f16_sdwa v26, v9, v33 dst_sel:DWORD dst_unused:UNUSED_PAD src0_sel:WORD_1 src1_sel:DWORD
	v_sub_f16_e32 v8, v42, v41
	v_fma_f16 v26, v9, v59, -v26
	v_mul_f16_e32 v100, 0xb1e1, v8
	v_add_f16_e32 v76, v14, v26
	s_mov_b32 s5, 0xbbdd
	v_fma_f16 v9, v76, s5, v100
	v_lshrrev_b32_e32 v60, 16, v34
	v_add_f16_e32 v58, v9, v58
	v_mul_f16_sdwa v9, v10, v60 dst_sel:DWORD dst_unused:UNUSED_PAD src0_sel:WORD_1 src1_sel:DWORD
	v_fma_f16 v59, v10, v34, v9
	v_mul_f16_sdwa v9, v13, v77 dst_sel:DWORD dst_unused:UNUSED_PAD src0_sel:WORD_1 src1_sel:DWORD
	v_fma_f16 v33, v13, v25, v9
	v_mul_f16_sdwa v25, v13, v25 dst_sel:DWORD dst_unused:UNUSED_PAD src0_sel:WORD_1 src1_sel:DWORD
	v_fma_f16 v13, v13, v77, -v25
	v_mul_f16_sdwa v25, v10, v34 dst_sel:DWORD dst_unused:UNUSED_PAD src0_sel:WORD_1 src1_sel:DWORD
	v_sub_f16_e32 v9, v59, v33
	v_fma_f16 v25, v10, v60, -v25
	v_mul_f16_e32 v101, 0x3bb2, v9
	v_add_f16_e32 v81, v13, v25
	s_mov_b32 s14, 0xb461
	v_fma_f16 v10, v81, s14, v101
	v_add_f16_e32 v58, v10, v58
	v_mul_f16_sdwa v10, v11, v61 dst_sel:DWORD dst_unused:UNUSED_PAD src0_sel:WORD_1 src1_sel:DWORD
	v_fma_f16 v62, v11, v78, v10
	v_mul_f16_sdwa v10, v12, v74 dst_sel:DWORD dst_unused:UNUSED_PAD src0_sel:WORD_1 src1_sel:DWORD
	v_mul_f16_sdwa v34, v12, v36 dst_sel:DWORD dst_unused:UNUSED_PAD src0_sel:WORD_1 src1_sel:DWORD
	v_fma_f16 v60, v12, v36, v10
	v_fma_f16 v34, v12, v74, -v34
	v_mul_f16_sdwa v12, v11, v78 dst_sel:DWORD dst_unused:UNUSED_PAD src0_sel:WORD_1 src1_sel:DWORD
	v_sub_f16_e32 v10, v62, v60
	v_fma_f16 v36, v11, v61, -v12
	v_mul_f16_e32 v102, 0x35c8, v10
	v_add_f16_e32 v85, v34, v36
	s_movk_i32 s15, 0x3b76
	v_fma_f16 v11, v85, s15, v102
	v_add_f16_e32 v12, v11, v58
	v_lshrrev_b32_e32 v58, 16, v78
	v_mul_f16_sdwa v11, v0, v58 dst_sel:DWORD dst_unused:UNUSED_PAD src0_sel:WORD_1 src1_sel:DWORD
	v_fma_f16 v73, v0, v38, v11
	v_mul_f16_sdwa v11, v7, v80 dst_sel:DWORD dst_unused:UNUSED_PAD src0_sel:WORD_1 src1_sel:DWORD
	v_fma_f16 v71, v7, v35, v11
	v_mul_f16_sdwa v35, v7, v35 dst_sel:DWORD dst_unused:UNUSED_PAD src0_sel:WORD_1 src1_sel:DWORD
	v_fma_f16 v61, v7, v80, -v35
	v_mul_f16_sdwa v7, v0, v38 dst_sel:DWORD dst_unused:UNUSED_PAD src0_sel:WORD_1 src1_sel:DWORD
	v_sub_f16_e32 v11, v73, v71
	v_fma_f16 v63, v0, v58, -v7
	v_mul_f16_e32 v103, 0xbb29, v11
	v_add_f16_e32 v90, v61, v63
	s_movk_i32 s16, 0x3722
	v_fma_f16 v0, v90, s16, v103
	v_add_f16_e32 v0, v0, v12
	v_lshrrev_b32_e32 v12, 16, v31
	v_mul_f16_sdwa v7, v1, v12 dst_sel:DWORD dst_unused:UNUSED_PAD src0_sel:WORD_1 src1_sel:DWORD
	v_lshrrev_b32_e32 v35, 16, v79
	v_fma_f16 v78, v1, v31, v7
	v_mul_f16_sdwa v7, v6, v35 dst_sel:DWORD dst_unused:UNUSED_PAD src0_sel:WORD_1 src1_sel:DWORD
	v_mul_f16_sdwa v38, v6, v40 dst_sel:DWORD dst_unused:UNUSED_PAD src0_sel:WORD_1 src1_sel:DWORD
	v_fma_f16 v77, v6, v40, v7
	v_fma_f16 v40, v6, v35, -v38
	v_mul_f16_sdwa v6, v1, v31 dst_sel:DWORD dst_unused:UNUSED_PAD src0_sel:WORD_1 src1_sel:DWORD
	v_sub_f16_e32 v7, v78, v77
	v_fma_f16 v74, v1, v12, -v6
	v_mul_f16_e32 v58, 0xb836, v7
	v_add_f16_e32 v92, v40, v74
	s_mov_b32 s19, 0xbacd
	v_fma_f16 v1, v92, s19, v58
	v_add_f16_e32 v0, v1, v0
	v_mul_f16_sdwa v1, v2, v75 dst_sel:DWORD dst_unused:UNUSED_PAD src0_sel:WORD_1 src1_sel:DWORD
	v_fma_f16 v83, v2, v84, v1
	v_mul_f16_sdwa v1, v5, v86 dst_sel:DWORD dst_unused:UNUSED_PAD src0_sel:WORD_1 src1_sel:DWORD
	v_mul_f16_sdwa v6, v5, v79 dst_sel:DWORD dst_unused:UNUSED_PAD src0_sel:WORD_1 src1_sel:DWORD
	v_fma_f16 v82, v5, v79, v1
	v_fma_f16 v79, v5, v86, -v6
	v_mul_f16_sdwa v5, v2, v84 dst_sel:DWORD dst_unused:UNUSED_PAD src0_sel:WORD_1 src1_sel:DWORD
	v_sub_f16_e32 v1, v83, v82
	v_fma_f16 v80, v2, v75, -v5
	v_mul_f16_e32 v104, 0x3a62, v1
	v_add_f16_e32 v93, v79, v80
	s_mov_b32 s22, 0xb8d2
	v_fma_f16 v2, v93, s22, v104
	v_lshrrev_b32_e32 v5, 16, v84
	v_add_f16_e32 v0, v2, v0
	v_mul_f16_sdwa v2, v3, v5 dst_sel:DWORD dst_unused:UNUSED_PAD src0_sel:WORD_1 src1_sel:DWORD
	v_lshrrev_b32_e32 v6, 16, v30
	v_fma_f16 v88, v3, v29, v2
	v_mul_f16_sdwa v2, v4, v6 dst_sel:DWORD dst_unused:UNUSED_PAD src0_sel:WORD_1 src1_sel:DWORD
	v_mul_f16_sdwa v12, v4, v30 dst_sel:DWORD dst_unused:UNUSED_PAD src0_sel:WORD_1 src1_sel:DWORD
	v_fma_f16 v89, v4, v30, v2
	v_fma_f16 v84, v4, v6, -v12
	v_mul_f16_sdwa v4, v3, v29 dst_sel:DWORD dst_unused:UNUSED_PAD src0_sel:WORD_1 src1_sel:DWORD
	v_sub_f16_e32 v2, v88, v89
	v_fma_f16 v86, v3, v5, -v4
	v_mul_f16_e32 v105, 0x3964, v2
	v_add_f16_e32 v95, v84, v86
	s_movk_i32 s23, 0x39e9
	v_fma_f16 v3, v95, s23, v105
	v_sub_f16_e32 v96, v37, v15
	v_add_f16_e32 v0, v3, v0
	v_add_f16_e32 v3, v32, v39
	v_mul_f16_e32 v106, 0xbbf7, v96
	v_sub_f16_e32 v97, v26, v14
	v_fma_f16 v4, v3, s4, -v106
	v_add_f16_e32 v5, v41, v42
	v_mul_f16_e32 v107, 0xb1e1, v97
	v_add_f16_e32 v4, v27, v4
	v_fma_f16 v6, v5, s5, -v107
	v_sub_f16_e32 v98, v25, v13
	v_add_f16_e32 v4, v6, v4
	v_add_f16_e32 v6, v33, v59
	v_mul_f16_e32 v108, 0x3bb2, v98
	v_fma_f16 v12, v6, s14, -v108
	v_sub_f16_e32 v99, v36, v34
	v_add_f16_e32 v4, v12, v4
	v_add_f16_e32 v12, v60, v62
	v_mul_f16_e32 v109, 0x35c8, v99
	;; [unrolled: 5-line block ×6, first 2 shown]
	v_fma_f16 v38, v35, s23, -v117
	v_mul_f16_e32 v118, 0xbbb2, v28
	v_fma_f16 v57, v72, s4, -v57
	v_add_f16_e32 v4, v38, v4
	v_fma_f16 v38, v72, s14, v118
	v_mul_f16_e32 v119, 0x3836, v8
	v_add_f16_sdwa v57, v27, v57 dst_sel:DWORD dst_unused:UNUSED_PAD src0_sel:WORD_1 src1_sel:DWORD
	v_fma_f16 v100, v76, s5, -v100
	v_add_f16_sdwa v38, v27, v38 dst_sel:DWORD dst_unused:UNUSED_PAD src0_sel:WORD_1 src1_sel:DWORD
	v_fma_f16 v75, v76, s19, v119
	v_mul_f16_e32 v120, 0x3964, v9
	v_add_f16_e32 v57, v100, v57
	v_fma_f16 v100, v81, s14, -v101
	v_add_f16_e32 v38, v75, v38
	v_fma_f16 v75, v81, s23, v120
	v_mul_f16_e32 v121, 0xbb29, v10
	v_add_f16_e32 v57, v100, v57
	v_fma_f16 v100, v85, s15, -v102
	v_add_f16_e32 v38, v75, v38
	;; [unrolled: 5-line block ×6, first 2 shown]
	v_fma_f16 v75, v95, s22, v125
	v_mul_f16_e32 v126, 0xbbb2, v96
	v_add_f16_e32 v57, v58, v57
	v_fma_f16 v58, v3, s4, v106
	v_add_f16_e32 v38, v75, v38
	v_fma_f16 v75, v3, s14, -v126
	v_mul_f16_e32 v127, 0x3836, v97
	v_add_f16_e32 v58, v27, v58
	v_fma_f16 v100, v5, s5, v107
	v_add_f16_e32 v75, v27, v75
	v_fma_f16 v87, v5, s19, -v127
	;; [unrolled: 5-line block ×8, first 2 shown]
	v_mul_f16_e32 v134, 0xba62, v28
	s_movk_i32 s31, 0x3b29
	v_add_f16_e32 v58, v100, v58
	v_mul_f16_e32 v100, 0x3722, v72
	s_movk_i32 s29, 0x3a62
	v_add_f16_e32 v75, v87, v75
	v_fma_f16 v87, v72, s22, v134
	v_mul_f16_e32 v135, 0x3bb2, v8
	v_fma_f16 v101, v28, s31, v100
	v_mul_f16_e32 v102, 0xb8d2, v76
	v_add_f16_sdwa v87, v27, v87 dst_sel:DWORD dst_unused:UNUSED_PAD src0_sel:WORD_1 src1_sel:DWORD
	v_fma_f16 v91, v76, s14, v135
	v_mul_f16_e32 v136, 0xb5c8, v9
	v_add_f16_sdwa v101, v27, v101 dst_sel:DWORD dst_unused:UNUSED_PAD src0_sel:WORD_1 src1_sel:DWORD
	v_fma_f16 v103, v8, s29, v102
	s_mov_b32 s13, 0xb1e1
	v_add_f16_e32 v87, v91, v87
	v_fma_f16 v91, v81, s15, v136
	v_mul_f16_e32 v137, 0xb836, v10
	v_add_f16_e32 v101, v103, v101
	v_mul_f16_e32 v103, 0xbbdd, v81
	v_add_f16_e32 v87, v91, v87
	v_fma_f16 v91, v85, s19, v137
	v_mul_f16_e32 v138, 0x3bf7, v11
	v_fma_f16 v104, v9, s13, v103
	s_mov_b32 s24, 0xbbb2
	v_add_f16_e32 v87, v91, v87
	v_fma_f16 v91, v90, s4, v138
	v_mul_f16_e32 v139, 0xb964, v7
	v_fma_f16 v118, v72, s14, -v118
	v_add_f16_e32 v101, v104, v101
	v_mul_f16_e32 v104, 0xb461, v85
	v_add_f16_e32 v87, v91, v87
	v_fma_f16 v91, v92, s23, v139
	v_mul_f16_e32 v140, 0xb1e1, v1
	v_add_f16_sdwa v118, v27, v118 dst_sel:DWORD dst_unused:UNUSED_PAD src0_sel:WORD_1 src1_sel:DWORD
	v_fma_f16 v119, v76, s19, -v119
	v_fma_f16 v105, v10, s24, v104
	s_mov_b32 s30, 0xb964
	v_add_f16_e32 v87, v91, v87
	v_fma_f16 v91, v93, s5, v140
	v_mul_f16_e32 v141, 0x3b29, v2
	v_add_f16_e32 v118, v119, v118
	v_fma_f16 v119, v81, s23, -v120
	v_add_f16_e32 v101, v105, v101
	v_mul_f16_e32 v105, 0x39e9, v90
	v_add_f16_e32 v87, v91, v87
	v_fma_f16 v91, v95, s16, v141
	v_mul_f16_e32 v142, 0xba62, v96
	v_add_f16_e32 v118, v119, v118
	v_fma_f16 v119, v85, s16, -v121
	v_fma_f16 v106, v11, s30, v105
	s_movk_i32 s20, 0x35c8
	v_add_f16_e32 v87, v91, v87
	v_fma_f16 v91, v3, s22, -v142
	v_mul_f16_e32 v143, 0x3bb2, v97
	v_add_f16_e32 v118, v119, v118
	v_fma_f16 v119, v90, s5, -v122
	v_add_f16_e32 v101, v106, v101
	v_mul_f16_e32 v106, 0x3b76, v92
	v_add_f16_e32 v91, v27, v91
	v_fma_f16 v94, v5, s14, -v143
	v_mul_f16_e32 v144, 0xb5c8, v98
	v_add_f16_e32 v118, v119, v118
	v_fma_f16 v119, v92, s4, -v123
	v_fma_f16 v107, v7, s20, v106
	s_movk_i32 s33, 0x3bf7
	v_add_f16_e32 v91, v94, v91
	v_fma_f16 v94, v6, s15, -v144
	v_mul_f16_e32 v145, 0xb836, v99
	v_add_f16_e32 v118, v119, v118
	v_fma_f16 v119, v93, s15, -v124
	v_add_f16_e32 v101, v107, v101
	v_mul_f16_e32 v107, 0x2de8, v93
	v_add_f16_e32 v91, v94, v91
	v_fma_f16 v94, v12, s19, -v145
	v_mul_f16_e32 v146, 0x3bf7, v110
	v_add_f16_e32 v118, v119, v118
	v_fma_f16 v119, v95, s22, -v125
	v_fma_f16 v108, v1, s33, v107
	s_movk_i32 s28, 0x3836
	v_add_f16_e32 v91, v94, v91
	v_fma_f16 v94, v29, s4, -v146
	v_mul_f16_e32 v147, 0xb964, v112
	v_add_f16_e32 v118, v119, v118
	v_fma_f16 v119, v3, s14, v126
	v_add_f16_e32 v101, v108, v101
	v_mul_f16_e32 v108, 0xbacd, v95
	v_add_f16_e32 v91, v94, v91
	v_fma_f16 v94, v30, s23, -v147
	v_mul_f16_e32 v148, 0xb1e1, v114
	v_add_f16_e32 v119, v27, v119
	v_fma_f16 v120, v5, s19, v127
	v_fma_f16 v109, v2, s28, v108
	v_add_f16_e32 v91, v94, v91
	v_fma_f16 v94, v31, s5, -v148
	v_mul_f16_e32 v149, 0x3b29, v116
	v_add_f16_e32 v119, v120, v119
	v_fma_f16 v120, v6, s23, v128
	v_add_f16_e32 v101, v109, v101
	v_mul_f16_e32 v109, 0xbb29, v96
	v_add_f16_e32 v39, v27, v39
	v_add_f16_e32 v91, v94, v91
	v_fma_f16 v94, v35, s16, -v149
	v_mul_f16_e32 v150, 0xb836, v28
	v_add_f16_e32 v119, v120, v119
	v_fma_f16 v120, v12, s16, v129
	v_fma_f16 v111, v3, s16, v109
	v_mul_f16_e32 v113, 0xba62, v97
	v_add_f16_e32 v39, v42, v39
	v_add_f16_e32 v91, v94, v91
	v_fma_f16 v94, v72, s19, v150
	v_mul_f16_e32 v151, 0x3b29, v8
	v_add_f16_e32 v119, v120, v119
	v_fma_f16 v120, v29, s5, v130
	v_add_f16_e32 v111, v27, v111
	v_fma_f16 v115, v5, s22, v113
	v_add_f16_e32 v39, v59, v39
	v_add_f16_sdwa v94, v27, v94 dst_sel:DWORD dst_unused:UNUSED_PAD src0_sel:WORD_1 src1_sel:DWORD
	v_fma_f16 v152, v76, s16, v151
	v_add_f16_e32 v119, v120, v119
	v_fma_f16 v120, v30, s4, v131
	v_add_f16_e32 v111, v115, v111
	v_mul_f16_e32 v115, 0x31e1, v98
	v_add_f16_e32 v39, v62, v39
	v_add_f16_e32 v94, v152, v94
	v_mul_f16_e32 v152, 0xbbf7, v9
	v_add_f16_e32 v119, v120, v119
	v_fma_f16 v120, v31, s15, v132
	v_fma_f16 v117, v6, s5, v115
	v_add_f16_e32 v39, v73, v39
	v_fma_f16 v153, v81, s4, v152
	v_add_f16_e32 v119, v120, v119
	;; [unrolled: 2-line block ×3, first 2 shown]
	v_mul_f16_e32 v117, 0x3bb2, v99
	v_add_f16_e32 v39, v78, v39
	v_add_f16_e32 v94, v153, v94
	v_mul_f16_e32 v153, 0x3a62, v10
	v_add_f16_e32 v119, v120, v119
	v_fma_f16 v120, v12, s14, v117
	v_add_f16_e32 v39, v83, v39
	v_fma_f16 v154, v85, s22, v153
	v_add_f16_e32 v111, v120, v111
	v_mul_f16_e32 v120, 0x3964, v110
	v_add_f16_e32 v39, v88, v39
	v_add_f16_e32 v94, v154, v94
	v_mul_f16_e32 v154, 0xb5c8, v11
	v_fma_f16 v121, v29, s23, v120
	v_add_f16_e32 v39, v89, v39
	v_fma_f16 v155, v90, s15, v154
	v_add_f16_e32 v111, v121, v111
	v_mul_f16_e32 v121, 0xb5c8, v112
	v_add_f16_e32 v39, v82, v39
	v_add_f16_e32 v94, v155, v94
	v_mul_f16_e32 v155, 0xb1e1, v7
	;; [unrolled: 8-line block ×4, first 2 shown]
	v_fma_f16 v124, v35, s19, v123
	v_add_f16_e32 v33, v41, v33
	s_movk_i32 s25, 0x3964
	v_fma_f16 v158, v95, s14, v157
	v_fma_f16 v134, v72, s22, -v134
	v_add_f16_e32 v111, v124, v111
	v_mul_f16_e32 v124, 0x39e9, v72
	v_add_f16_e32 v32, v32, v33
	v_add_f16_sdwa v33, v37, v27 dst_sel:DWORD dst_unused:UNUSED_PAD src0_sel:DWORD src1_sel:WORD_1
	v_add_f16_e32 v94, v158, v94
	v_mul_f16_e32 v158, 0xb836, v96
	v_add_f16_sdwa v134, v27, v134 dst_sel:DWORD dst_unused:UNUSED_PAD src0_sel:WORD_1 src1_sel:DWORD
	v_fma_f16 v135, v76, s14, -v135
	v_fma_f16 v125, v28, s25, v124
	v_mul_f16_e32 v126, 0x2de8, v76
	v_add_f16_e32 v26, v26, v33
	v_fma_f16 v159, v3, s19, -v158
	v_mul_f16_e32 v160, 0x3b29, v97
	v_add_f16_e32 v134, v135, v134
	v_fma_f16 v135, v81, s15, -v136
	v_add_f16_sdwa v125, v27, v125 dst_sel:DWORD dst_unused:UNUSED_PAD src0_sel:WORD_1 src1_sel:DWORD
	v_fma_f16 v127, v8, s33, v126
	v_add_f16_e32 v25, v25, v26
	v_add_f16_e32 v159, v27, v159
	v_fma_f16 v161, v5, s16, -v160
	v_add_f16_e32 v134, v135, v134
	v_fma_f16 v135, v85, s19, -v137
	v_add_f16_e32 v125, v127, v125
	v_mul_f16_e32 v127, 0xb8d2, v81
	v_add_f16_e32 v25, v36, v25
	v_add_f16_e32 v159, v161, v159
	v_mul_f16_e32 v161, 0xbbf7, v98
	v_add_f16_e32 v134, v135, v134
	v_fma_f16 v135, v90, s4, -v138
	v_fma_f16 v128, v9, s29, v127
	v_add_f16_e32 v25, v63, v25
	v_fma_f16 v162, v6, s4, -v161
	v_add_f16_e32 v134, v135, v134
	v_fma_f16 v135, v92, s23, -v139
	s_movk_i32 s34, 0x31e1
	v_add_f16_e32 v125, v128, v125
	v_mul_f16_e32 v128, 0xbbdd, v85
	v_add_f16_e32 v25, v74, v25
	v_add_f16_e32 v159, v162, v159
	v_mul_f16_e32 v162, 0x3a62, v99
	v_add_f16_e32 v134, v135, v134
	v_fma_f16 v135, v93, s5, -v140
	v_fma_f16 v129, v10, s34, v128
	v_add_f16_e32 v25, v80, v25
	s_mov_b32 s21, 0xb836
	v_fma_f16 v163, v12, s22, -v162
	v_add_f16_e32 v134, v135, v134
	v_fma_f16 v135, v95, s16, -v141
	v_add_f16_e32 v125, v129, v125
	v_mul_f16_e32 v129, 0xbacd, v90
	v_add_f16_e32 v25, v86, v25
	v_add_f16_e32 v159, v163, v159
	v_mul_f16_e32 v163, 0xb5c8, v110
	v_add_f16_e32 v134, v135, v134
	v_fma_f16 v135, v3, s22, v142
	v_fma_f16 v130, v11, s21, v129
	v_add_f16_e32 v25, v84, v25
	v_fma_f16 v164, v29, s15, -v163
	v_add_f16_e32 v135, v27, v135
	v_fma_f16 v136, v5, s14, v143
	v_add_f16_e32 v125, v130, v125
	v_mul_f16_e32 v130, 0xb461, v92
	v_add_f16_e32 v25, v79, v25
	v_add_f16_e32 v159, v164, v159
	v_mul_f16_e32 v164, 0xb1e1, v112
	v_add_f16_e32 v135, v136, v135
	v_fma_f16 v136, v6, s15, v144
	v_fma_f16 v131, v7, s24, v130
	v_add_f16_e32 v25, v40, v25
	s_mov_b32 s18, 0xbb29
	v_fma_f16 v165, v30, s5, -v164
	v_add_f16_e32 v135, v136, v135
	v_fma_f16 v136, v12, s19, v145
	v_add_f16_e32 v125, v131, v125
	v_mul_f16_e32 v131, 0x3722, v93
	v_add_f16_e32 v25, v61, v25
	v_add_f16_e32 v159, v165, v159
	v_mul_f16_e32 v165, 0x3964, v114
	v_add_f16_e32 v135, v136, v135
	v_fma_f16 v136, v29, s4, v146
	v_fma_f16 v132, v1, s18, v131
	v_add_f16_e32 v25, v34, v25
	s_mov_b32 s27, 0xb5c8
	v_fma_f16 v166, v31, s23, -v165
	v_add_f16_e32 v135, v136, v135
	v_fma_f16 v136, v30, s23, v147
	v_add_f16_e32 v125, v132, v125
	v_mul_f16_e32 v132, 0x3b76, v95
	v_add_f16_e32 v13, v13, v25
	s_mov_b32 s26, 0xba62
	v_add_f16_e32 v159, v166, v159
	v_mul_f16_e32 v166, 0xbbb2, v116
	v_add_f16_e32 v135, v136, v135
	v_fma_f16 v136, v31, s5, v148
	v_fma_f16 v133, v2, s27, v132
	v_add_f16_e32 v13, v14, v13
	v_fma_f16 v14, v28, s18, v100
	v_fma_f16 v167, v35, s14, -v166
	v_add_f16_e32 v135, v136, v135
	v_fma_f16 v136, v35, s16, v149
	v_add_f16_e32 v125, v133, v125
	v_mul_f16_e32 v133, 0xb964, v96
	v_add_f16_e32 v13, v15, v13
	v_add_f16_sdwa v14, v27, v14 dst_sel:DWORD dst_unused:UNUSED_PAD src0_sel:WORD_1 src1_sel:DWORD
	v_fma_f16 v15, v8, s26, v102
	s_movk_i32 s17, 0x3bb2
	v_add_f16_e32 v159, v167, v159
	v_mul_f16_e32 v167, 0xb1e1, v28
	v_add_f16_e32 v135, v136, v135
	v_fma_f16 v136, v3, s23, v133
	v_mul_f16_e32 v137, 0xbbf7, v97
	v_add_f16_e32 v14, v15, v14
	v_fma_f16 v15, v9, s34, v103
	v_fma_f16 v168, v72, s5, v167
	v_mul_f16_e32 v169, 0x35c8, v8
	v_add_f16_e32 v136, v27, v136
	v_fma_f16 v138, v5, s4, v137
	v_add_f16_e32 v14, v15, v14
	v_fma_f16 v15, v10, s17, v104
	v_add_f16_sdwa v168, v27, v168 dst_sel:DWORD dst_unused:UNUSED_PAD src0_sel:WORD_1 src1_sel:DWORD
	v_fma_f16 v170, v76, s15, v169
	v_add_f16_e32 v136, v138, v136
	v_mul_f16_e32 v138, 0xba62, v98
	v_add_f16_e32 v14, v15, v14
	v_fma_f16 v15, v11, s25, v105
	s_mov_b32 s12, 0xbbf7
	v_add_f16_e32 v168, v170, v168
	v_mul_f16_e32 v170, 0xb836, v9
	v_fma_f16 v139, v6, s22, v138
	v_add_f16_e32 v14, v15, v14
	v_fma_f16 v15, v7, s27, v106
	v_fma_f16 v171, v81, s19, v170
	v_add_f16_e32 v136, v139, v136
	v_mul_f16_e32 v139, 0xb1e1, v99
	v_add_f16_e32 v14, v15, v14
	v_fma_f16 v15, v1, s12, v107
	v_add_f16_e32 v168, v171, v168
	v_mul_f16_e32 v171, 0x3964, v10
	v_fma_f16 v140, v12, s5, v139
	v_add_f16_e32 v14, v15, v14
	v_fma_f16 v15, v2, s21, v108
	v_fma_f16 v172, v85, s23, v171
	v_add_f16_e32 v136, v140, v136
	v_mul_f16_e32 v140, 0x3836, v110
	v_add_f16_e32 v14, v15, v14
	v_fma_f16 v15, v3, s16, -v109
	v_add_f16_e32 v168, v172, v168
	v_mul_f16_e32 v172, 0xba62, v11
	v_fma_f16 v141, v29, s19, v140
	v_add_f16_e32 v15, v27, v15
	v_fma_f16 v25, v5, s22, -v113
	v_fma_f16 v173, v90, s22, v172
	v_add_f16_e32 v136, v141, v136
	v_mul_f16_e32 v141, 0x3bb2, v112
	v_add_f16_e32 v15, v25, v15
	v_fma_f16 v25, v6, s5, -v115
	v_add_f16_e32 v168, v173, v168
	v_mul_f16_e32 v173, 0x3b29, v7
	v_fma_f16 v142, v30, s14, v141
	v_add_f16_e32 v15, v25, v15
	v_fma_f16 v25, v12, s14, -v117
	v_fma_f16 v174, v92, s16, v173
	v_add_f16_e32 v136, v142, v136
	v_mul_f16_e32 v142, 0x3b29, v114
	v_add_f16_e32 v15, v25, v15
	v_fma_f16 v25, v29, s23, -v120
	v_add_f16_e32 v168, v174, v168
	v_mul_f16_e32 v174, 0xbbb2, v1
	v_fma_f16 v143, v31, s16, v142
	v_add_f16_e32 v15, v25, v15
	v_fma_f16 v25, v30, s15, -v121
	v_fma_f16 v175, v93, s14, v174
	v_add_f16_e32 v136, v143, v136
	v_mul_f16_e32 v143, 0x35c8, v116
	v_add_f16_e32 v15, v25, v15
	v_fma_f16 v25, v31, s4, -v122
	v_add_f16_e32 v168, v175, v168
	v_mul_f16_e32 v175, 0x3bf7, v2
	v_fma_f16 v167, v72, s5, -v167
	v_fma_f16 v150, v72, s19, -v150
	v_fma_f16 v144, v35, s15, v143
	v_mul_f16_e32 v72, 0x3b76, v72
	v_add_f16_e32 v15, v25, v15
	v_fma_f16 v25, v35, s19, -v123
	v_fma_f16 v176, v95, s4, v175
	v_add_f16_sdwa v167, v27, v167 dst_sel:DWORD dst_unused:UNUSED_PAD src0_sel:WORD_1 src1_sel:DWORD
	v_fma_f16 v169, v76, s15, -v169
	v_add_f16_sdwa v150, v27, v150 dst_sel:DWORD dst_unused:UNUSED_PAD src0_sel:WORD_1 src1_sel:DWORD
	v_fma_f16 v151, v76, s16, -v151
	v_add_f16_e32 v136, v144, v136
	v_fma_f16 v144, v28, s20, v72
	v_mul_f16_e32 v76, 0x39e9, v76
	v_add_f16_e32 v15, v25, v15
	v_fma_f16 v25, v28, s30, v124
	v_fma_f16 v28, v28, s27, v72
	v_add_f16_e32 v168, v176, v168
	v_mul_f16_e32 v176, 0xb1e1, v96
	v_add_f16_e32 v167, v169, v167
	v_fma_f16 v169, v81, s19, -v170
	v_add_f16_e32 v150, v151, v150
	v_fma_f16 v151, v81, s4, -v152
	v_add_f16_sdwa v144, v27, v144 dst_sel:DWORD dst_unused:UNUSED_PAD src0_sel:WORD_1 src1_sel:DWORD
	v_fma_f16 v145, v8, s25, v76
	v_mul_f16_e32 v81, 0x3722, v81
	v_add_f16_sdwa v25, v27, v25 dst_sel:DWORD dst_unused:UNUSED_PAD src0_sel:WORD_1 src1_sel:DWORD
	v_fma_f16 v26, v8, s12, v126
	v_add_f16_sdwa v28, v27, v28 dst_sel:DWORD dst_unused:UNUSED_PAD src0_sel:WORD_1 src1_sel:DWORD
	v_fma_f16 v8, v8, s30, v76
	v_fma_f16 v177, v3, s5, -v176
	v_mul_f16_e32 v178, 0x35c8, v97
	v_add_f16_e32 v167, v169, v167
	v_fma_f16 v169, v85, s23, -v171
	v_add_f16_e32 v150, v151, v150
	v_fma_f16 v151, v85, s22, -v153
	v_add_f16_e32 v144, v145, v144
	v_fma_f16 v145, v9, s31, v81
	v_mul_f16_e32 v85, 0x2de8, v85
	v_add_f16_e32 v25, v26, v25
	v_fma_f16 v26, v9, s26, v127
	v_add_f16_e32 v8, v8, v28
	v_fma_f16 v9, v9, s18, v81
	v_add_f16_e32 v177, v27, v177
	v_fma_f16 v179, v5, s15, -v178
	v_add_f16_e32 v167, v169, v167
	v_fma_f16 v169, v90, s22, -v172
	;; [unrolled: 2-line block ×3, first 2 shown]
	v_add_f16_e32 v144, v145, v144
	v_fma_f16 v145, v10, s33, v85
	v_mul_f16_e32 v90, 0xb461, v90
	v_add_f16_e32 v25, v26, v25
	v_fma_f16 v26, v10, s13, v128
	v_add_f16_e32 v8, v9, v8
	v_fma_f16 v9, v10, s12, v85
	v_add_f16_e32 v177, v179, v177
	v_mul_f16_e32 v179, 0xb836, v98
	v_add_f16_e32 v167, v169, v167
	v_fma_f16 v169, v92, s16, -v173
	v_add_f16_e32 v150, v151, v150
	v_fma_f16 v151, v92, s5, -v155
	v_add_f16_e32 v144, v145, v144
	v_fma_f16 v145, v11, s17, v90
	v_mul_f16_e32 v92, 0xb8d2, v92
	v_add_f16_e32 v25, v26, v25
	v_fma_f16 v26, v11, s28, v129
	v_add_f16_e32 v8, v9, v8
	v_fma_f16 v9, v11, s24, v90
	v_fma_f16 v180, v6, s19, -v179
	v_add_f16_e32 v167, v169, v167
	v_fma_f16 v169, v93, s14, -v174
	v_add_f16_e32 v150, v151, v150
	;; [unrolled: 2-line block ×3, first 2 shown]
	v_fma_f16 v145, v7, s29, v92
	v_mul_f16_e32 v93, 0xbacd, v93
	v_add_f16_e32 v25, v26, v25
	v_fma_f16 v26, v7, s17, v130
	v_add_f16_e32 v8, v9, v8
	v_fma_f16 v7, v7, s26, v92
	v_add_f16_e32 v177, v180, v177
	v_mul_f16_e32 v180, 0x3964, v99
	v_add_f16_e32 v167, v169, v167
	v_fma_f16 v169, v95, s4, -v175
	v_add_f16_e32 v150, v151, v150
	v_fma_f16 v151, v95, s14, -v157
	v_add_f16_e32 v144, v145, v144
	v_fma_f16 v145, v1, s28, v93
	v_mul_f16_e32 v95, 0xbbdd, v95
	v_add_f16_e32 v25, v26, v25
	v_fma_f16 v26, v1, s31, v131
	v_add_f16_e32 v7, v7, v8
	v_fma_f16 v1, v1, s21, v93
	v_fma_f16 v181, v12, s23, -v180
	v_add_f16_e32 v144, v145, v144
	v_fma_f16 v145, v2, s34, v95
	v_mul_f16_e32 v96, 0xb5c8, v96
	v_add_f16_e32 v25, v26, v25
	v_fma_f16 v26, v2, s20, v132
	v_add_f16_e32 v1, v1, v7
	v_fma_f16 v2, v2, s13, v95
	v_add_f16_e32 v177, v181, v177
	v_mul_f16_e32 v181, 0xba62, v110
	v_add_f16_e32 v144, v145, v144
	v_fma_f16 v145, v3, s15, v96
	v_mul_f16_e32 v97, 0xb964, v97
	v_add_f16_e32 v1, v2, v1
	v_fma_f16 v2, v3, s15, -v96
	v_fma_f16 v182, v29, s22, -v181
	v_add_f16_e32 v167, v169, v167
	v_fma_f16 v169, v3, s5, v176
	v_add_f16_e32 v150, v151, v150
	v_fma_f16 v151, v3, s19, v158
	;; [unrolled: 2-line block ×3, first 2 shown]
	v_mul_f16_e32 v98, 0xbb29, v98
	v_add_f16_e32 v25, v26, v25
	v_fma_f16 v26, v3, s23, -v133
	v_add_f16_e32 v2, v27, v2
	v_fma_f16 v3, v5, s23, -v97
	v_add_f16_e32 v177, v182, v177
	v_mul_f16_e32 v182, 0x3b29, v112
	v_add_f16_e32 v145, v146, v145
	v_fma_f16 v146, v6, s16, v98
	v_mul_f16_e32 v99, 0xbbf7, v99
	v_add_f16_e32 v2, v3, v2
	v_fma_f16 v3, v6, s16, -v98
	v_fma_f16 v183, v30, s16, -v182
	v_add_f16_e32 v145, v146, v145
	v_fma_f16 v146, v12, s4, v99
	v_mul_f16_e32 v110, 0xbbb2, v110
	v_add_f16_e32 v2, v3, v2
	v_fma_f16 v3, v12, s4, -v99
	v_add_f16_e32 v177, v183, v177
	v_mul_f16_e32 v183, 0xbbb2, v114
	v_add_f16_e32 v151, v27, v151
	v_fma_f16 v152, v5, s16, v160
	v_add_f16_e32 v145, v146, v145
	v_fma_f16 v146, v29, s14, v110
	v_mul_f16_e32 v112, 0xba62, v112
	v_add_f16_e32 v2, v3, v2
	v_fma_f16 v3, v29, s14, -v110
	v_fma_f16 v184, v31, s14, -v183
	v_add_f16_e32 v169, v27, v169
	v_fma_f16 v170, v5, s15, v178
	v_add_f16_e32 v151, v152, v151
	v_fma_f16 v152, v6, s4, v161
	;; [unrolled: 2-line block ×3, first 2 shown]
	v_mul_f16_e32 v114, 0xb836, v114
	v_add_f16_e32 v2, v3, v2
	v_fma_f16 v3, v30, s22, -v112
	v_add_f16_e32 v177, v184, v177
	v_mul_f16_e32 v184, 0x3bf7, v116
	v_add_f16_e32 v169, v170, v169
	v_fma_f16 v170, v6, s19, v179
	v_add_f16_e32 v151, v152, v151
	v_fma_f16 v152, v12, s22, v162
	;; [unrolled: 2-line block ×3, first 2 shown]
	v_mul_f16_e32 v116, 0xb1e1, v116
	v_add_f16_e32 v2, v3, v2
	v_fma_f16 v3, v31, s19, -v114
	v_add_f16_e32 v169, v170, v169
	v_fma_f16 v170, v12, s23, v180
	v_add_f16_e32 v151, v152, v151
	v_fma_f16 v152, v29, s15, v163
	;; [unrolled: 2-line block ×3, first 2 shown]
	v_add_f16_e32 v2, v3, v2
	v_fma_f16 v3, v35, s5, -v116
	v_add_f16_e32 v169, v170, v169
	v_fma_f16 v170, v29, s22, v181
	v_add_f16_e32 v151, v152, v151
	v_fma_f16 v152, v30, s5, v164
	v_add_f16_e32 v145, v146, v145
	v_add_f16_e32 v26, v27, v26
	v_fma_f16 v33, v5, s4, -v137
	v_add_f16_e32 v2, v3, v2
	v_mul_u32_u24_e32 v3, 51, v186
	v_add_f16_e32 v169, v170, v169
	v_fma_f16 v170, v30, s16, v182
	v_add_f16_e32 v151, v152, v151
	v_fma_f16 v152, v31, s23, v165
	v_add_f16_e32 v26, v33, v26
	v_fma_f16 v33, v6, s22, -v138
	v_add_lshl_u32 v3, v3, v187, 2
	v_pack_b32_f16 v5, v32, v13
	v_pack_b32_f16 v6, v145, v144
	v_add_f16_e32 v169, v170, v169
	v_fma_f16 v170, v31, s14, v183
	v_add_f16_e32 v151, v152, v151
	v_fma_f16 v152, v35, s14, v166
	v_add_f16_e32 v26, v33, v26
	v_fma_f16 v33, v12, s5, -v139
	ds_write2_b32 v3, v5, v6 offset1:3
	v_pack_b32_f16 v5, v136, v125
	v_pack_b32_f16 v6, v111, v101
	v_fma_f16 v185, v35, s4, -v184
	v_add_f16_e32 v169, v170, v169
	v_fma_f16 v170, v35, s4, v184
	v_add_f16_e32 v151, v152, v151
	v_add_f16_e32 v26, v33, v26
	v_fma_f16 v33, v29, s19, -v140
	ds_write2_b32 v3, v5, v6 offset0:6 offset1:9
	v_pack_b32_f16 v5, v58, v57
	v_pack_b32_f16 v6, v119, v118
	v_add_f16_e32 v177, v185, v177
	v_add_f16_e32 v169, v170, v169
	;; [unrolled: 1-line block ×3, first 2 shown]
	v_fma_f16 v33, v30, s14, -v141
	ds_write2_b32 v3, v5, v6 offset0:12 offset1:15
	v_pack_b32_f16 v5, v135, v134
	v_pack_b32_f16 v6, v151, v150
	v_add_f16_e32 v26, v33, v26
	v_fma_f16 v33, v31, s16, -v142
	ds_write2_b32 v3, v5, v6 offset0:18 offset1:21
	v_pack_b32_f16 v5, v169, v167
	v_pack_b32_f16 v6, v177, v168
	v_add_f16_e32 v26, v33, v26
	;; [unrolled: 5-line block ×3, first 2 shown]
	ds_write2_b32 v3, v5, v6 offset0:30 offset1:33
	v_pack_b32_f16 v5, v75, v38
	v_pack_b32_f16 v0, v4, v0
	ds_write2_b32 v3, v5, v0 offset0:36 offset1:39
	v_pack_b32_f16 v0, v15, v14
	v_pack_b32_f16 v4, v26, v25
	ds_write2_b32 v3, v0, v4 offset0:42 offset1:45
	v_pack_b32_f16 v0, v2, v1
	ds_write_b32 v3, v0 offset:192
.LBB0_21:
	s_or_b64 exec, exec, s[2:3]
	s_waitcnt lgkmcnt(0)
	; wave barrier
	s_waitcnt lgkmcnt(0)
	ds_read2_b32 v[4:5], v43 offset0:102 offset1:153
	ds_read2_b32 v[6:7], v43 offset1:51
	ds_read2_b32 v[8:9], v43 offset0:204 offset1:255
	v_add_u32_e32 v1, 0x400, v43
	ds_read2_b32 v[10:11], v1 offset0:50 offset1:101
	ds_read2_b32 v[12:13], v1 offset0:152 offset1:203
	s_waitcnt lgkmcnt(4)
	v_lshrrev_b32_e32 v2, 16, v4
	v_mul_f16_sdwa v38, v16, v2 dst_sel:DWORD dst_unused:UNUSED_PAD src0_sel:WORD_1 src1_sel:DWORD
	v_add_u32_e32 v3, 0x600, v43
	s_waitcnt lgkmcnt(2)
	v_lshrrev_b32_e32 v27, 16, v8
	v_fma_f16 v38, v16, v4, v38
	v_mul_f16_sdwa v4, v16, v4 dst_sel:DWORD dst_unused:UNUSED_PAD src0_sel:WORD_1 src1_sel:DWORD
	ds_read2_b32 v[14:15], v3 offset0:126 offset1:177
	v_fma_f16 v2, v16, v2, -v4
	v_mul_f16_sdwa v4, v17, v27 dst_sel:DWORD dst_unused:UNUSED_PAD src0_sel:WORD_1 src1_sel:DWORD
	v_add_u32_e32 v0, 0x800, v43
	s_waitcnt lgkmcnt(2)
	v_lshrrev_b32_e32 v28, 16, v10
	v_fma_f16 v4, v17, v8, v4
	v_mul_f16_sdwa v8, v17, v8 dst_sel:DWORD dst_unused:UNUSED_PAD src0_sel:WORD_1 src1_sel:DWORD
	ds_read2_b32 v[25:26], v0 offset0:100 offset1:151
	v_fma_f16 v8, v17, v27, -v8
	v_mul_f16_sdwa v27, v18, v28 dst_sel:DWORD dst_unused:UNUSED_PAD src0_sel:WORD_1 src1_sel:DWORD
	s_waitcnt lgkmcnt(2)
	v_lshrrev_b32_e32 v29, 16, v12
	v_fma_f16 v27, v18, v10, v27
	v_mul_f16_sdwa v10, v18, v10 dst_sel:DWORD dst_unused:UNUSED_PAD src0_sel:WORD_1 src1_sel:DWORD
	v_fma_f16 v10, v18, v28, -v10
	v_mul_f16_sdwa v28, v19, v29 dst_sel:DWORD dst_unused:UNUSED_PAD src0_sel:WORD_1 src1_sel:DWORD
	s_waitcnt lgkmcnt(1)
	v_lshrrev_b32_e32 v30, 16, v14
	v_fma_f16 v28, v19, v12, v28
	v_mul_f16_sdwa v12, v19, v12 dst_sel:DWORD dst_unused:UNUSED_PAD src0_sel:WORD_1 src1_sel:DWORD
	;; [unrolled: 6-line block ×3, first 2 shown]
	v_fma_f16 v14, v23, v30, -v14
	v_mul_f16_sdwa v30, v24, v31 dst_sel:DWORD dst_unused:UNUSED_PAD src0_sel:WORD_1 src1_sel:DWORD
	v_lshrrev_b32_e32 v32, 16, v5
	v_fma_f16 v30, v24, v25, v30
	v_mul_f16_sdwa v25, v24, v25 dst_sel:DWORD dst_unused:UNUSED_PAD src0_sel:WORD_1 src1_sel:DWORD
	v_fma_f16 v25, v24, v31, -v25
	v_mul_f16_sdwa v31, v16, v32 dst_sel:DWORD dst_unused:UNUSED_PAD src0_sel:WORD_1 src1_sel:DWORD
	v_lshrrev_b32_e32 v33, 16, v9
	v_fma_f16 v31, v16, v5, v31
	v_mul_f16_sdwa v5, v16, v5 dst_sel:DWORD dst_unused:UNUSED_PAD src0_sel:WORD_1 src1_sel:DWORD
	;; [unrolled: 5-line block ×6, first 2 shown]
	v_fma_f16 v15, v23, v36, -v15
	v_mul_f16_sdwa v23, v24, v37 dst_sel:DWORD dst_unused:UNUSED_PAD src0_sel:WORD_1 src1_sel:DWORD
	v_fma_f16 v23, v24, v26, v23
	v_mul_f16_sdwa v26, v24, v26 dst_sel:DWORD dst_unused:UNUSED_PAD src0_sel:WORD_1 src1_sel:DWORD
	v_fma_f16 v24, v24, v37, -v26
	v_add_f16_e32 v26, v38, v30
	v_add_f16_e32 v32, v2, v25
	v_sub_f16_e32 v2, v2, v25
	v_add_f16_e32 v25, v4, v29
	v_add_f16_e32 v33, v8, v14
	v_sub_f16_e32 v30, v38, v30
	v_sub_f16_e32 v4, v4, v29
	;; [unrolled: 1-line block ×3, first 2 shown]
	v_add_f16_e32 v14, v27, v28
	v_add_f16_e32 v29, v10, v12
	v_sub_f16_e32 v27, v28, v27
	v_sub_f16_e32 v10, v12, v10
	v_add_f16_e32 v12, v25, v26
	v_add_f16_e32 v28, v33, v32
	v_sub_f16_e32 v34, v25, v26
	v_sub_f16_e32 v35, v33, v32
	;; [unrolled: 1-line block ×6, first 2 shown]
	v_add_f16_e32 v36, v27, v4
	v_add_f16_e32 v37, v10, v8
	v_sub_f16_e32 v38, v27, v4
	v_sub_f16_e32 v39, v10, v8
	;; [unrolled: 1-line block ×4, first 2 shown]
	v_add_f16_e32 v12, v14, v12
	v_add_f16_e32 v14, v29, v28
	v_sub_f16_e32 v27, v30, v27
	v_sub_f16_e32 v10, v2, v10
	v_add_f16_e32 v28, v36, v30
	v_add_f16_e32 v2, v37, v2
	v_add_f16_e32 v29, v6, v12
	v_add_f16_sdwa v6, v6, v14 dst_sel:DWORD dst_unused:UNUSED_PAD src0_sel:WORD_1 src1_sel:DWORD
	v_mul_f16_e32 v26, 0x3a52, v26
	v_mul_f16_e32 v30, 0x3a52, v32
	s_movk_i32 s2, 0x2b26
	v_mul_f16_e32 v32, 0x2b26, v25
	v_mul_f16_e32 v36, 0x2b26, v33
	;; [unrolled: 1-line block ×4, first 2 shown]
	s_mov_b32 s3, 0xbb00
	v_mul_f16_e32 v39, 0xbb00, v4
	v_mul_f16_e32 v40, 0xbb00, v8
	s_mov_b32 s4, 0xbcab
	s_movk_i32 s5, 0x39e0
	s_mov_b32 s12, 0xb9e0
	s_mov_b32 s13, 0xb574
	s_movk_i32 s14, 0x3574
	v_fma_f16 v12, v12, s4, v29
	v_fma_f16 v14, v14, s4, v6
	;; [unrolled: 1-line block ×4, first 2 shown]
	v_fma_f16 v32, v34, s5, -v32
	v_fma_f16 v36, v35, s5, -v36
	;; [unrolled: 1-line block ×4, first 2 shown]
	v_fma_f16 v34, v27, s13, v37
	v_fma_f16 v35, v10, s13, v38
	v_fma_f16 v8, v8, s3, -v38
	v_fma_f16 v27, v27, s14, -v39
	;; [unrolled: 1-line block ×3, first 2 shown]
	s_mov_b32 s15, 0xb70e
	v_fma_f16 v4, v4, s3, -v37
	v_add_f16_e32 v25, v25, v12
	v_add_f16_e32 v33, v33, v14
	;; [unrolled: 1-line block ×6, first 2 shown]
	v_fma_f16 v26, v28, s15, v34
	v_fma_f16 v30, v2, s15, v35
	;; [unrolled: 1-line block ×6, first 2 shown]
	v_add_f16_e32 v10, v30, v25
	v_sub_f16_e32 v28, v33, v26
	v_add_f16_e32 v34, v2, v12
	v_sub_f16_e32 v35, v14, v27
	v_sub_f16_e32 v2, v12, v2
	v_add_f16_e32 v12, v27, v14
	v_sub_f16_e32 v14, v25, v30
	v_add_f16_e32 v25, v26, v33
	v_add_f16_e32 v26, v31, v23
	;; [unrolled: 1-line block ×3, first 2 shown]
	v_sub_f16_e32 v5, v5, v24
	v_add_f16_e32 v24, v16, v19
	v_add_f16_e32 v30, v9, v15
	v_sub_f16_e32 v23, v31, v23
	v_sub_f16_e32 v16, v16, v19
	;; [unrolled: 1-line block ×3, first 2 shown]
	v_add_f16_e32 v15, v17, v18
	v_add_f16_e32 v19, v11, v13
	v_sub_f16_e32 v17, v18, v17
	v_sub_f16_e32 v11, v13, v11
	v_add_f16_e32 v13, v24, v26
	v_add_f16_e32 v18, v30, v27
	v_sub_f16_e32 v37, v32, v8
	v_add_f16_e32 v38, v4, v36
	v_add_f16_e32 v8, v8, v32
	v_sub_f16_e32 v4, v36, v4
	v_sub_f16_e32 v31, v24, v26
	;; [unrolled: 1-line block ×7, first 2 shown]
	v_add_f16_e32 v33, v17, v16
	v_add_f16_e32 v36, v11, v9
	v_sub_f16_e32 v39, v17, v16
	v_sub_f16_e32 v40, v11, v9
	;; [unrolled: 1-line block ×4, first 2 shown]
	v_add_f16_e32 v13, v15, v13
	v_add_f16_e32 v15, v19, v18
	v_sub_f16_e32 v17, v23, v17
	v_sub_f16_e32 v11, v5, v11
	v_add_f16_e32 v18, v33, v23
	v_add_f16_e32 v5, v36, v5
	;; [unrolled: 1-line block ×3, first 2 shown]
	v_add_f16_sdwa v7, v7, v15 dst_sel:DWORD dst_unused:UNUSED_PAD src0_sel:WORD_1 src1_sel:DWORD
	v_mul_f16_e32 v23, 0x3a52, v26
	v_mul_f16_e32 v26, 0x3a52, v27
	v_mul_f16_e32 v27, 0x2b26, v24
	v_mul_f16_e32 v33, 0x2b26, v30
	v_mul_f16_e32 v36, 0x3846, v39
	v_mul_f16_e32 v39, 0x3846, v40
	v_mul_f16_e32 v40, 0xbb00, v16
	v_mul_f16_e32 v41, 0xbb00, v9
	v_fma_f16 v13, v13, s4, v19
	v_fma_f16 v15, v15, s4, v7
	;; [unrolled: 1-line block ×4, first 2 shown]
	v_fma_f16 v27, v31, s5, -v27
	v_fma_f16 v33, v32, s5, -v33
	;; [unrolled: 1-line block ×4, first 2 shown]
	v_fma_f16 v31, v17, s13, v36
	v_fma_f16 v32, v11, s13, v39
	v_fma_f16 v9, v9, s3, -v39
	v_fma_f16 v17, v17, s14, -v40
	;; [unrolled: 1-line block ×4, first 2 shown]
	v_add_f16_e32 v24, v24, v13
	v_add_f16_e32 v30, v30, v15
	;; [unrolled: 1-line block ×6, first 2 shown]
	v_fma_f16 v23, v18, s15, v31
	v_fma_f16 v26, v5, s15, v32
	;; [unrolled: 1-line block ×5, first 2 shown]
	v_pack_b32_f16 v6, v29, v6
	v_pack_b32_f16 v10, v10, v28
	;; [unrolled: 1-line block ×4, first 2 shown]
	v_fma_f16 v16, v18, s15, v16
	v_add_f16_e32 v11, v26, v24
	v_sub_f16_e32 v18, v30, v23
	v_add_f16_e32 v31, v5, v13
	v_sub_f16_e32 v32, v15, v17
	s_waitcnt lgkmcnt(0)
	; wave barrier
	ds_write2_b32 v43, v6, v10 offset1:51
	ds_write2_b32 v43, v4, v2 offset0:204 offset1:255
	v_pack_b32_f16 v2, v14, v25
	v_pack_b32_f16 v4, v19, v7
	v_sub_f16_e32 v36, v27, v9
	v_add_f16_e32 v39, v16, v33
	v_add_f16_e32 v9, v9, v27
	v_sub_f16_e32 v16, v33, v16
	ds_write2_b32 v1, v2, v4 offset0:50 offset1:101
	v_pack_b32_f16 v2, v11, v18
	v_pack_b32_f16 v4, v31, v32
	v_sub_f16_e32 v5, v13, v5
	v_add_f16_e32 v13, v17, v15
	v_sub_f16_e32 v15, v24, v26
	v_add_f16_e32 v17, v23, v30
	ds_write2_b32 v1, v2, v4 offset0:152 offset1:203
	v_pack_b32_f16 v2, v36, v39
	v_pack_b32_f16 v4, v9, v16
	;; [unrolled: 1-line block ×4, first 2 shown]
	ds_write2_b32 v3, v2, v4 offset0:126 offset1:177
	v_pack_b32_f16 v2, v5, v13
	v_pack_b32_f16 v4, v15, v17
	ds_write2_b32 v43, v6, v10 offset0:102 offset1:153
	ds_write2_b32 v0, v2, v4 offset0:100 offset1:151
	s_waitcnt lgkmcnt(0)
	; wave barrier
	s_waitcnt lgkmcnt(0)
	ds_read2_b32 v[4:5], v43 offset1:51
	ds_read2_b32 v[6:7], v1 offset0:50 offset1:101
	ds_read2_b32 v[8:9], v1 offset0:152 offset1:203
	;; [unrolled: 1-line block ×6, first 2 shown]
	s_waitcnt lgkmcnt(5)
	v_lshrrev_b32_e32 v18, 16, v7
	v_mul_f16_sdwa v34, v64, v18 dst_sel:DWORD dst_unused:UNUSED_PAD src0_sel:WORD_1 src1_sel:DWORD
	s_waitcnt lgkmcnt(4)
	v_lshrrev_b32_e32 v23, 16, v8
	v_fma_f16 v34, v64, v7, v34
	v_mul_f16_sdwa v7, v64, v7 dst_sel:DWORD dst_unused:UNUSED_PAD src0_sel:WORD_1 src1_sel:DWORD
	v_fma_f16 v7, v64, v18, -v7
	v_mul_f16_sdwa v18, v65, v23 dst_sel:DWORD dst_unused:UNUSED_PAD src0_sel:WORD_1 src1_sel:DWORD
	v_lshrrev_b32_e32 v25, 16, v9
	v_fma_f16 v18, v65, v8, v18
	v_mul_f16_sdwa v8, v65, v8 dst_sel:DWORD dst_unused:UNUSED_PAD src0_sel:WORD_1 src1_sel:DWORD
	v_fma_f16 v8, v65, v23, -v8
	v_mul_f16_sdwa v23, v66, v25 dst_sel:DWORD dst_unused:UNUSED_PAD src0_sel:WORD_1 src1_sel:DWORD
	s_waitcnt lgkmcnt(2)
	v_lshrrev_b32_e32 v27, 16, v12
	v_fma_f16 v23, v66, v9, v23
	v_mul_f16_sdwa v9, v66, v9 dst_sel:DWORD dst_unused:UNUSED_PAD src0_sel:WORD_1 src1_sel:DWORD
	v_fma_f16 v9, v66, v25, -v9
	v_mul_f16_sdwa v25, v67, v27 dst_sel:DWORD dst_unused:UNUSED_PAD src0_sel:WORD_1 src1_sel:DWORD
	v_lshrrev_b32_e32 v29, 16, v13
	v_fma_f16 v25, v67, v12, v25
	v_mul_f16_sdwa v12, v67, v12 dst_sel:DWORD dst_unused:UNUSED_PAD src0_sel:WORD_1 src1_sel:DWORD
	v_fma_f16 v12, v67, v27, -v12
	;; [unrolled: 11-line block ×3, first 2 shown]
	v_mul_f16_sdwa v31, v70, v33 dst_sel:DWORD dst_unused:UNUSED_PAD src0_sel:WORD_1 src1_sel:DWORD
	v_lshrrev_b32_e32 v2, 16, v4
	v_fma_f16 v31, v70, v17, v31
	v_mul_f16_sdwa v17, v70, v17 dst_sel:DWORD dst_unused:UNUSED_PAD src0_sel:WORD_1 src1_sel:DWORD
	v_lshrrev_b32_e32 v19, 16, v5
	v_fma_f16 v17, v70, v33, -v17
	v_sub_f16_e32 v33, v4, v34
	v_sub_f16_e32 v7, v2, v7
	v_fma_f16 v4, v4, 2.0, -v33
	v_fma_f16 v2, v2, 2.0, -v7
	v_sub_f16_e32 v18, v5, v18
	v_sub_f16_e32 v8, v19, v8
	v_lshrrev_b32_e32 v24, 16, v10
	v_lshrrev_b32_e32 v26, 16, v11
	v_fma_f16 v5, v5, 2.0, -v18
	v_fma_f16 v19, v19, 2.0, -v8
	v_pack_b32_f16 v2, v4, v2
	v_pack_b32_f16 v4, v33, v7
	v_sub_f16_e32 v23, v10, v23
	v_sub_f16_e32 v9, v24, v9
	;; [unrolled: 1-line block ×4, first 2 shown]
	ds_write_b32 v43, v4 offset:1428
	v_pack_b32_f16 v4, v5, v19
	v_lshrrev_b32_e32 v28, 16, v14
	v_lshrrev_b32_e32 v30, 16, v15
	v_fma_f16 v10, v10, 2.0, -v23
	v_fma_f16 v24, v24, 2.0, -v9
	v_fma_f16 v11, v11, 2.0, -v25
	v_fma_f16 v26, v26, 2.0, -v12
	ds_write2_b32 v43, v2, v4 offset1:51
	v_pack_b32_f16 v2, v18, v8
	v_pack_b32_f16 v5, v23, v9
	v_lshrrev_b32_e32 v32, 16, v6
	v_sub_f16_e32 v27, v14, v27
	v_sub_f16_e32 v13, v28, v13
	;; [unrolled: 1-line block ×4, first 2 shown]
	v_pack_b32_f16 v4, v10, v24
	ds_write2_b32 v1, v2, v5 offset0:152 offset1:203
	v_pack_b32_f16 v2, v11, v26
	v_fma_f16 v14, v14, 2.0, -v27
	v_fma_f16 v28, v28, 2.0, -v13
	;; [unrolled: 1-line block ×4, first 2 shown]
	v_sub_f16_e32 v31, v6, v31
	v_sub_f16_e32 v17, v32, v17
	ds_write2_b32 v43, v4, v2 offset0:102 offset1:153
	v_pack_b32_f16 v2, v25, v12
	v_pack_b32_f16 v5, v27, v13
	v_fma_f16 v6, v6, 2.0, -v31
	v_fma_f16 v32, v32, 2.0, -v17
	v_pack_b32_f16 v4, v14, v28
	ds_write2_b32 v3, v2, v5 offset0:126 offset1:177
	v_pack_b32_f16 v2, v15, v30
	ds_write2_b32 v43, v4, v2 offset0:204 offset1:255
	v_pack_b32_f16 v4, v6, v32
	v_pack_b32_f16 v2, v29, v16
	ds_write_b32 v43, v4 offset:1224
	v_pack_b32_f16 v4, v31, v17
	ds_write2_b32 v0, v2, v4 offset0:100 offset1:151
	s_waitcnt lgkmcnt(0)
	; wave barrier
	s_waitcnt lgkmcnt(0)
	ds_read2_b32 v[4:5], v43 offset1:51
	s_mov_b32 s12, 0x16f26017
	s_mov_b32 s13, 0x3f56f260
	v_mad_u64_u32 v[6:7], s[2:3], s10, v22, 0
	s_waitcnt lgkmcnt(0)
	v_lshrrev_b32_e32 v12, 16, v4
	v_mul_f16_sdwa v2, v56, v12 dst_sel:DWORD dst_unused:UNUSED_PAD src0_sel:WORD_1 src1_sel:DWORD
	v_fma_f16 v2, v56, v4, v2
	v_cvt_f32_f16_e32 v2, v2
	s_movk_i32 s15, 0x1ff
	s_movk_i32 s10, 0xffe
	v_mul_f16_sdwa v4, v56, v4 dst_sel:DWORD dst_unused:UNUSED_PAD src0_sel:WORD_1 src1_sel:DWORD
	v_cvt_f64_f32_e32 v[8:9], v2
	v_mov_b32_e32 v2, v7
	v_mad_u64_u32 v[10:11], s[2:3], s11, v22, v[2:3]
	v_mul_f64 v[8:9], v[8:9], s[12:13]
	v_fma_f16 v4, v56, v12, -v4
	v_mov_b32_e32 v7, v10
	v_cvt_f32_f16_e32 v4, v4
	s_movk_i32 s11, 0x40f
	s_mov_b32 s14, 0x8000
	v_lshlrev_b64 v[6:7], 2, v[6:7]
	v_and_or_b32 v2, v9, s15, v8
	v_cmp_ne_u32_e32 vcc, 0, v2
	v_cndmask_b32_e64 v2, 0, 1, vcc
	v_lshrrev_b32_e32 v8, 8, v9
	v_bfe_u32 v10, v9, 20, 11
	v_and_or_b32 v8, v8, s10, v2
	v_sub_u32_e32 v11, 0x3f1, v10
	v_or_b32_e32 v2, 0x1000, v8
	v_med3_i32 v11, v11, 0, 13
	v_lshrrev_b32_e32 v13, v11, v2
	v_lshlrev_b32_e32 v11, v11, v13
	v_cmp_ne_u32_e32 vcc, v11, v2
	v_cndmask_b32_e64 v2, 0, 1, vcc
	v_or_b32_e32 v2, v13, v2
	v_add_u32_e32 v13, 0xfffffc10, v10
	v_lshl_or_b32 v10, v13, 12, v8
	v_cmp_gt_i32_e32 vcc, 1, v13
	v_cndmask_b32_e32 v2, v10, v2, vcc
	v_and_b32_e32 v10, 7, v2
	v_cmp_lt_i32_e32 vcc, 5, v10
	v_cmp_eq_u32_e64 s[2:3], 3, v10
	v_cvt_f64_f32_e32 v[10:11], v4
	v_lshrrev_b32_e32 v2, 2, v2
	s_or_b64 vcc, s[2:3], vcc
	v_addc_co_u32_e32 v12, vcc, 0, v2, vcc
	v_mul_f64 v[10:11], v[10:11], s[12:13]
	v_mov_b32_e32 v2, 0x7c00
	v_cmp_gt_i32_e32 vcc, 31, v13
	v_cndmask_b32_e32 v4, v2, v12, vcc
	v_cmp_ne_u32_e32 vcc, 0, v8
	v_cndmask_b32_e64 v8, 0, 1, vcc
	v_lshl_or_b32 v8, v8, 9, v2
	v_cmp_eq_u32_e32 vcc, s11, v13
	v_cndmask_b32_e32 v4, v4, v8, vcc
	v_lshrrev_b32_e32 v8, 16, v9
	v_and_or_b32 v14, v8, s14, v4
	v_and_or_b32 v4, v11, s15, v10
	v_cmp_ne_u32_e32 vcc, 0, v4
	v_cndmask_b32_e64 v4, 0, 1, vcc
	v_lshrrev_b32_e32 v8, 8, v11
	v_bfe_u32 v9, v11, 20, 11
	v_and_or_b32 v4, v8, s10, v4
	v_sub_u32_e32 v10, 0x3f1, v9
	v_or_b32_e32 v8, 0x1000, v4
	v_med3_i32 v10, v10, 0, 13
	v_lshrrev_b32_e32 v12, v10, v8
	v_lshlrev_b32_e32 v10, v10, v12
	v_cmp_ne_u32_e32 vcc, v10, v8
	v_cndmask_b32_e64 v8, 0, 1, vcc
	v_add_u32_e32 v9, 0xfffffc10, v9
	v_or_b32_e32 v8, v12, v8
	v_lshl_or_b32 v10, v9, 12, v4
	v_cmp_gt_i32_e32 vcc, 1, v9
	v_cndmask_b32_e32 v8, v10, v8, vcc
	v_and_b32_e32 v10, 7, v8
	v_cmp_lt_i32_e32 vcc, 5, v10
	v_cmp_eq_u32_e64 s[2:3], 3, v10
	v_lshrrev_b32_e32 v8, 2, v8
	s_or_b64 vcc, s[2:3], vcc
	v_addc_co_u32_e32 v8, vcc, 0, v8, vcc
	v_cmp_gt_i32_e32 vcc, 31, v9
	v_cndmask_b32_e32 v8, v2, v8, vcc
	v_cmp_ne_u32_e32 vcc, 0, v4
	v_cndmask_b32_e64 v4, 0, 1, vcc
	v_lshl_or_b32 v4, v4, 9, v2
	v_cmp_eq_u32_e32 vcc, s11, v9
	v_cndmask_b32_e32 v15, v8, v4, vcc
	v_add_u32_e32 v4, 0x200, v43
	v_mad_u64_u32 v[8:9], s[2:3], s8, v54, 0
	ds_read2_b32 v[12:13], v4 offset0:110 offset1:161
	v_lshrrev_b32_e32 v11, 16, v11
	v_mov_b32_e32 v4, v9
	v_mad_u64_u32 v[9:10], s[2:3], s9, v54, v[4:5]
	s_waitcnt lgkmcnt(0)
	v_lshrrev_b32_e32 v4, 16, v12
	v_mul_f16_sdwa v10, v55, v4 dst_sel:DWORD dst_unused:UNUSED_PAD src0_sel:WORD_1 src1_sel:DWORD
	v_fma_f16 v10, v55, v12, v10
	v_cvt_f32_f16_e32 v10, v10
	v_and_or_b32 v15, v11, s14, v15
	v_and_b32_e32 v14, 0xffff, v14
	v_lshl_or_b32 v14, v15, 16, v14
	v_cvt_f64_f32_e32 v[10:11], v10
	v_mov_b32_e32 v15, s7
	v_add_co_u32_e32 v16, vcc, s6, v6
	v_mul_f64 v[10:11], v[10:11], s[12:13]
	v_addc_co_u32_e32 v15, vcc, v15, v7, vcc
	v_lshlrev_b64 v[6:7], 2, v[8:9]
	v_mul_f16_sdwa v12, v55, v12 dst_sel:DWORD dst_unused:UNUSED_PAD src0_sel:WORD_1 src1_sel:DWORD
	v_add_co_u32_e32 v6, vcc, v16, v6
	v_addc_co_u32_e32 v7, vcc, v15, v7, vcc
	v_and_or_b32 v8, v11, s15, v10
	v_cmp_ne_u32_e32 vcc, 0, v8
	v_cndmask_b32_e64 v8, 0, 1, vcc
	v_lshrrev_b32_e32 v9, 8, v11
	v_and_or_b32 v10, v9, s10, v8
	v_bfe_u32 v9, v11, 20, 11
	global_store_dword v[6:7], v14, off
	v_sub_u32_e32 v14, 0x3f1, v9
	v_or_b32_e32 v8, 0x1000, v10
	v_med3_i32 v14, v14, 0, 13
	v_lshrrev_b32_e32 v15, v14, v8
	v_lshlrev_b32_e32 v14, v14, v15
	v_cmp_ne_u32_e32 vcc, v14, v8
	v_fma_f16 v4, v55, v4, -v12
	v_cndmask_b32_e64 v8, 0, 1, vcc
	v_add_u32_e32 v14, 0xfffffc10, v9
	v_cvt_f32_f16_e32 v4, v4
	v_or_b32_e32 v8, v15, v8
	v_lshl_or_b32 v9, v14, 12, v10
	v_cmp_gt_i32_e32 vcc, 1, v14
	v_cndmask_b32_e32 v8, v9, v8, vcc
	v_and_b32_e32 v9, 7, v8
	v_cmp_lt_i32_e32 vcc, 5, v9
	v_cmp_eq_u32_e64 s[2:3], 3, v9
	v_lshrrev_b32_e32 v12, 2, v8
	v_cvt_f64_f32_e32 v[8:9], v4
	s_or_b64 vcc, s[2:3], vcc
	v_addc_co_u32_e32 v4, vcc, 0, v12, vcc
	v_mul_f64 v[8:9], v[8:9], s[12:13]
	v_cmp_gt_i32_e32 vcc, 31, v14
	v_cndmask_b32_e32 v4, v2, v4, vcc
	v_cmp_ne_u32_e32 vcc, 0, v10
	v_cndmask_b32_e64 v10, 0, 1, vcc
	v_lshl_or_b32 v10, v10, 9, v2
	v_cmp_eq_u32_e32 vcc, s11, v14
	v_cndmask_b32_e32 v4, v4, v10, vcc
	v_lshrrev_b32_e32 v10, 16, v11
	v_and_or_b32 v12, v10, s14, v4
	v_and_or_b32 v4, v9, s15, v8
	v_cmp_ne_u32_e32 vcc, 0, v4
	v_cndmask_b32_e64 v4, 0, 1, vcc
	v_lshrrev_b32_e32 v8, 8, v9
	v_bfe_u32 v10, v9, 20, 11
	v_and_or_b32 v4, v8, s10, v4
	v_sub_u32_e32 v11, 0x3f1, v10
	v_or_b32_e32 v8, 0x1000, v4
	v_med3_i32 v11, v11, 0, 13
	v_lshrrev_b32_e32 v14, v11, v8
	v_lshlrev_b32_e32 v11, v11, v14
	v_cmp_ne_u32_e32 vcc, v11, v8
	v_cndmask_b32_e64 v8, 0, 1, vcc
	v_or_b32_e32 v8, v14, v8
	v_add_u32_e32 v14, 0xfffffc10, v10
	v_lshl_or_b32 v10, v14, 12, v4
	v_cmp_gt_i32_e32 vcc, 1, v14
	v_cndmask_b32_e32 v8, v10, v8, vcc
	v_and_b32_e32 v10, 7, v8
	v_cmp_lt_i32_e32 vcc, 5, v10
	v_cmp_eq_u32_e64 s[2:3], 3, v10
	v_lshrrev_b32_e32 v8, 2, v8
	s_or_b64 vcc, s[2:3], vcc
	v_addc_co_u32_e32 v8, vcc, 0, v8, vcc
	ds_read2_b32 v[10:11], v3 offset0:92 offset1:143
	v_cmp_gt_i32_e32 vcc, 31, v14
	v_cndmask_b32_e32 v8, v2, v8, vcc
	v_cmp_ne_u32_e32 vcc, 0, v4
	v_cndmask_b32_e64 v4, 0, 1, vcc
	v_lshl_or_b32 v4, v4, 9, v2
	v_cmp_eq_u32_e32 vcc, s11, v14
	v_cndmask_b32_e32 v3, v8, v4, vcc
	v_lshrrev_b32_e32 v4, 16, v9
	s_waitcnt lgkmcnt(0)
	v_lshrrev_b32_e32 v14, 16, v10
	v_and_or_b32 v8, v4, s14, v3
	v_mul_f16_sdwa v3, v53, v14 dst_sel:DWORD dst_unused:UNUSED_PAD src0_sel:WORD_1 src1_sel:DWORD
	v_fma_f16 v3, v53, v10, v3
	v_cvt_f32_f16_e32 v3, v3
	v_and_b32_e32 v9, 0xffff, v12
	v_lshl_or_b32 v12, v8, 16, v9
	s_mul_i32 s2, s9, 0xee
	v_cvt_f64_f32_e32 v[3:4], v3
	s_mul_hi_u32 s3, s8, 0xee
	s_add_i32 s3, s3, s2
	s_mul_i32 s2, s8, 0xee
	v_mul_f64 v[8:9], v[3:4], s[12:13]
	s_lshl_b64 s[6:7], s[2:3], 2
	v_mov_b32_e32 v3, s7
	v_add_co_u32_e32 v6, vcc, s6, v6
	v_addc_co_u32_e32 v7, vcc, v7, v3, vcc
	global_store_dword v[6:7], v12, off
	v_and_or_b32 v4, v9, s15, v8
	v_cmp_ne_u32_e32 vcc, 0, v4
	v_cndmask_b32_e64 v4, 0, 1, vcc
	v_lshrrev_b32_e32 v8, 8, v9
	v_bfe_u32 v12, v9, 20, 11
	v_and_or_b32 v4, v8, s10, v4
	v_sub_u32_e32 v15, 0x3f1, v12
	v_or_b32_e32 v8, 0x1000, v4
	v_med3_i32 v15, v15, 0, 13
	v_lshrrev_b32_e32 v16, v15, v8
	v_lshlrev_b32_e32 v15, v15, v16
	v_mul_f16_sdwa v10, v53, v10 dst_sel:DWORD dst_unused:UNUSED_PAD src0_sel:WORD_1 src1_sel:DWORD
	v_cmp_ne_u32_e32 vcc, v15, v8
	v_fma_f16 v10, v53, v14, -v10
	v_cndmask_b32_e64 v8, 0, 1, vcc
	v_add_u32_e32 v12, 0xfffffc10, v12
	v_cvt_f32_f16_e32 v10, v10
	v_or_b32_e32 v8, v16, v8
	v_lshl_or_b32 v15, v12, 12, v4
	v_cmp_gt_i32_e32 vcc, 1, v12
	v_cndmask_b32_e32 v8, v15, v8, vcc
	v_and_b32_e32 v15, 7, v8
	v_cmp_lt_i32_e32 vcc, 5, v15
	v_cmp_eq_u32_e64 s[2:3], 3, v15
	v_cvt_f64_f32_e32 v[14:15], v10
	v_lshrrev_b32_e32 v8, 2, v8
	s_or_b64 vcc, s[2:3], vcc
	v_addc_co_u32_e32 v8, vcc, 0, v8, vcc
	v_mul_f64 v[14:15], v[14:15], s[12:13]
	v_cmp_gt_i32_e32 vcc, 31, v12
	v_cndmask_b32_e32 v8, v2, v8, vcc
	v_cmp_ne_u32_e32 vcc, 0, v4
	v_cndmask_b32_e64 v4, 0, 1, vcc
	v_lshl_or_b32 v4, v4, 9, v2
	v_cmp_eq_u32_e32 vcc, s11, v12
	v_cndmask_b32_e32 v4, v8, v4, vcc
	v_lshrrev_b32_e32 v8, 16, v9
	v_and_or_b32 v4, v8, s14, v4
	v_and_or_b32 v8, v15, s15, v14
	v_cmp_ne_u32_e32 vcc, 0, v8
	v_cndmask_b32_e64 v8, 0, 1, vcc
	v_lshrrev_b32_e32 v9, 8, v15
	v_bfe_u32 v10, v15, 20, 11
	v_and_or_b32 v8, v9, s10, v8
	v_sub_u32_e32 v12, 0x3f1, v10
	v_or_b32_e32 v9, 0x1000, v8
	v_med3_i32 v12, v12, 0, 13
	v_lshrrev_b32_e32 v14, v12, v9
	v_lshlrev_b32_e32 v12, v12, v14
	v_cmp_ne_u32_e32 vcc, v12, v9
	v_cndmask_b32_e64 v9, 0, 1, vcc
	v_add_u32_e32 v10, 0xfffffc10, v10
	v_or_b32_e32 v9, v14, v9
	v_lshl_or_b32 v12, v10, 12, v8
	v_cmp_gt_i32_e32 vcc, 1, v10
	v_cndmask_b32_e32 v9, v12, v9, vcc
	v_and_b32_e32 v12, 7, v9
	v_cmp_lt_i32_e32 vcc, 5, v12
	v_cmp_eq_u32_e64 s[2:3], 3, v12
	v_lshrrev_b32_e32 v9, 2, v9
	s_or_b64 vcc, s[2:3], vcc
	v_addc_co_u32_e32 v9, vcc, 0, v9, vcc
	v_cmp_gt_i32_e32 vcc, 31, v10
	v_lshrrev_b32_e32 v14, 16, v5
	v_cndmask_b32_e32 v12, v2, v9, vcc
	v_mul_f16_sdwa v9, v52, v14 dst_sel:DWORD dst_unused:UNUSED_PAD src0_sel:WORD_1 src1_sel:DWORD
	v_fma_f16 v9, v52, v5, v9
	v_cvt_f32_f16_e32 v9, v9
	v_cmp_ne_u32_e32 vcc, 0, v8
	v_cndmask_b32_e64 v8, 0, 1, vcc
	v_lshl_or_b32 v16, v8, 9, v2
	v_cvt_f64_f32_e32 v[8:9], v9
	v_cmp_eq_u32_e32 vcc, s11, v10
	v_cndmask_b32_e32 v10, v12, v16, vcc
	v_lshrrev_b32_e32 v12, 16, v15
	v_mul_f64 v[8:9], v[8:9], s[12:13]
	v_and_or_b32 v10, v12, s14, v10
	v_and_b32_e32 v4, 0xffff, v4
	v_add_co_u32_e32 v6, vcc, s6, v6
	v_lshl_or_b32 v4, v10, 16, v4
	v_addc_co_u32_e32 v7, vcc, v7, v3, vcc
	global_store_dword v[6:7], v4, off
	v_and_or_b32 v4, v9, s15, v8
	v_cmp_ne_u32_e32 vcc, 0, v4
	v_cndmask_b32_e64 v4, 0, 1, vcc
	v_lshrrev_b32_e32 v8, 8, v9
	v_bfe_u32 v10, v9, 20, 11
	v_and_or_b32 v8, v8, s10, v4
	v_sub_u32_e32 v12, 0x3f1, v10
	v_or_b32_e32 v4, 0x1000, v8
	v_med3_i32 v12, v12, 0, 13
	v_lshrrev_b32_e32 v15, v12, v4
	v_lshlrev_b32_e32 v12, v12, v15
	v_mul_f16_sdwa v5, v52, v5 dst_sel:DWORD dst_unused:UNUSED_PAD src0_sel:WORD_1 src1_sel:DWORD
	v_cmp_ne_u32_e32 vcc, v12, v4
	v_fma_f16 v5, v52, v14, -v5
	v_cndmask_b32_e64 v4, 0, 1, vcc
	v_add_u32_e32 v10, 0xfffffc10, v10
	v_cvt_f32_f16_e32 v5, v5
	v_or_b32_e32 v4, v15, v4
	v_lshl_or_b32 v12, v10, 12, v8
	v_cmp_gt_i32_e32 vcc, 1, v10
	v_cndmask_b32_e32 v4, v12, v4, vcc
	v_and_b32_e32 v12, 7, v4
	v_cmp_lt_i32_e32 vcc, 5, v12
	v_cmp_eq_u32_e64 s[2:3], 3, v12
	v_lshrrev_b32_e32 v12, 2, v4
	v_cvt_f64_f32_e32 v[4:5], v5
	s_or_b64 vcc, s[2:3], vcc
	v_addc_co_u32_e32 v12, vcc, 0, v12, vcc
	v_mul_f64 v[4:5], v[4:5], s[12:13]
	v_cmp_gt_i32_e32 vcc, 31, v10
	v_cndmask_b32_e32 v12, v2, v12, vcc
	v_cmp_ne_u32_e32 vcc, 0, v8
	v_cndmask_b32_e64 v8, 0, 1, vcc
	v_lshl_or_b32 v8, v8, 9, v2
	v_cmp_eq_u32_e32 vcc, s11, v10
	v_cndmask_b32_e32 v8, v12, v8, vcc
	v_and_or_b32 v4, v5, s15, v4
	v_lshrrev_b32_e32 v9, 16, v9
	v_cmp_ne_u32_e32 vcc, 0, v4
	v_and_or_b32 v8, v9, s14, v8
	v_cndmask_b32_e64 v4, 0, 1, vcc
	v_lshrrev_b32_e32 v9, 8, v5
	v_bfe_u32 v10, v5, 20, 11
	v_and_or_b32 v4, v9, s10, v4
	v_sub_u32_e32 v12, 0x3f1, v10
	v_or_b32_e32 v9, 0x1000, v4
	v_med3_i32 v12, v12, 0, 13
	v_lshrrev_b32_e32 v14, v12, v9
	v_lshlrev_b32_e32 v12, v12, v14
	v_cmp_ne_u32_e32 vcc, v12, v9
	v_cndmask_b32_e64 v9, 0, 1, vcc
	v_add_u32_e32 v10, 0xfffffc10, v10
	v_or_b32_e32 v9, v14, v9
	v_lshl_or_b32 v12, v10, 12, v4
	v_cmp_gt_i32_e32 vcc, 1, v10
	v_cndmask_b32_e32 v9, v12, v9, vcc
	v_and_b32_e32 v12, 7, v9
	v_cmp_lt_i32_e32 vcc, 5, v12
	v_cmp_eq_u32_e64 s[2:3], 3, v12
	v_lshrrev_b32_e32 v9, 2, v9
	s_or_b64 vcc, s[2:3], vcc
	v_addc_co_u32_e32 v9, vcc, 0, v9, vcc
	v_cmp_gt_i32_e32 vcc, 31, v10
	v_cndmask_b32_e32 v9, v2, v9, vcc
	v_cmp_ne_u32_e32 vcc, 0, v4
	v_cndmask_b32_e64 v4, 0, 1, vcc
	v_lshl_or_b32 v4, v4, 9, v2
	v_cmp_eq_u32_e32 vcc, s11, v10
	v_cndmask_b32_e32 v4, v9, v4, vcc
	v_lshrrev_b32_e32 v5, 16, v5
	v_lshrrev_b32_e32 v10, 16, v13
	v_and_or_b32 v9, v5, s14, v4
	v_mul_f16_sdwa v4, v51, v10 dst_sel:DWORD dst_unused:UNUSED_PAD src0_sel:WORD_1 src1_sel:DWORD
	v_fma_f16 v4, v51, v13, v4
	v_cvt_f32_f16_e32 v4, v4
	v_and_b32_e32 v8, 0xffff, v8
	v_lshl_or_b32 v12, v9, 16, v8
	s_mul_hi_u32 s3, s8, 0xfffffe57
	v_cvt_f64_f32_e32 v[4:5], v4
	s_mul_i32 s2, s9, 0xfffffe57
	s_sub_i32 s3, s3, s8
	s_add_i32 s3, s3, s2
	v_mul_f64 v[8:9], v[4:5], s[12:13]
	s_mul_i32 s2, s8, 0xfffffe57
	s_lshl_b64 s[4:5], s[2:3], 2
	v_mov_b32_e32 v4, s5
	v_add_co_u32_e32 v5, vcc, s4, v6
	v_addc_co_u32_e32 v6, vcc, v7, v4, vcc
	v_and_or_b32 v7, v9, s15, v8
	v_cmp_ne_u32_e32 vcc, 0, v7
	v_cndmask_b32_e64 v7, 0, 1, vcc
	v_lshrrev_b32_e32 v8, 8, v9
	global_store_dword v[5:6], v12, off
	v_and_or_b32 v12, v8, s10, v7
	v_bfe_u32 v8, v9, 20, 11
	v_sub_u32_e32 v14, 0x3f1, v8
	v_or_b32_e32 v7, 0x1000, v12
	v_med3_i32 v14, v14, 0, 13
	v_lshrrev_b32_e32 v15, v14, v7
	v_lshlrev_b32_e32 v14, v14, v15
	v_mul_f16_sdwa v13, v51, v13 dst_sel:DWORD dst_unused:UNUSED_PAD src0_sel:WORD_1 src1_sel:DWORD
	v_cmp_ne_u32_e32 vcc, v14, v7
	v_fma_f16 v10, v51, v10, -v13
	v_cndmask_b32_e64 v7, 0, 1, vcc
	v_add_u32_e32 v14, 0xfffffc10, v8
	v_cvt_f32_f16_e32 v10, v10
	v_or_b32_e32 v7, v15, v7
	v_lshl_or_b32 v8, v14, 12, v12
	v_cmp_gt_i32_e32 vcc, 1, v14
	v_cndmask_b32_e32 v7, v8, v7, vcc
	v_and_b32_e32 v8, 7, v7
	v_cmp_lt_i32_e32 vcc, 5, v8
	v_cmp_eq_u32_e64 s[2:3], 3, v8
	v_lshrrev_b32_e32 v13, 2, v7
	v_cvt_f64_f32_e32 v[7:8], v10
	s_or_b64 vcc, s[2:3], vcc
	v_addc_co_u32_e32 v10, vcc, 0, v13, vcc
	v_mul_f64 v[7:8], v[7:8], s[12:13]
	v_cmp_gt_i32_e32 vcc, 31, v14
	v_cndmask_b32_e32 v10, v2, v10, vcc
	v_cmp_ne_u32_e32 vcc, 0, v12
	v_cndmask_b32_e64 v12, 0, 1, vcc
	v_lshl_or_b32 v12, v12, 9, v2
	v_cmp_eq_u32_e32 vcc, s11, v14
	v_cndmask_b32_e32 v10, v10, v12, vcc
	v_and_or_b32 v7, v8, s15, v7
	v_lshrrev_b32_e32 v9, 16, v9
	v_cmp_ne_u32_e32 vcc, 0, v7
	v_and_or_b32 v12, v9, s14, v10
	v_cndmask_b32_e64 v7, 0, 1, vcc
	v_lshrrev_b32_e32 v9, 8, v8
	v_bfe_u32 v10, v8, 20, 11
	v_and_or_b32 v7, v9, s10, v7
	v_sub_u32_e32 v13, 0x3f1, v10
	v_or_b32_e32 v9, 0x1000, v7
	v_med3_i32 v13, v13, 0, 13
	v_lshrrev_b32_e32 v14, v13, v9
	v_lshlrev_b32_e32 v13, v13, v14
	v_cmp_ne_u32_e32 vcc, v13, v9
	v_cndmask_b32_e64 v9, 0, 1, vcc
	v_add_u32_e32 v13, 0xfffffc10, v10
	v_or_b32_e32 v9, v14, v9
	v_lshl_or_b32 v10, v13, 12, v7
	v_cmp_gt_i32_e32 vcc, 1, v13
	v_cndmask_b32_e32 v9, v10, v9, vcc
	v_and_b32_e32 v10, 7, v9
	v_cmp_lt_i32_e32 vcc, 5, v10
	v_cmp_eq_u32_e64 s[2:3], 3, v10
	v_lshrrev_b32_e32 v9, 2, v9
	s_or_b64 vcc, s[2:3], vcc
	v_addc_co_u32_e32 v9, vcc, 0, v9, vcc
	v_cmp_gt_i32_e32 vcc, 31, v13
	v_lshrrev_b32_e32 v15, 16, v11
	v_cndmask_b32_e32 v14, v2, v9, vcc
	v_mul_f16_sdwa v9, v50, v15 dst_sel:DWORD dst_unused:UNUSED_PAD src0_sel:WORD_1 src1_sel:DWORD
	v_fma_f16 v9, v50, v11, v9
	v_cvt_f32_f16_e32 v9, v9
	v_cmp_ne_u32_e32 vcc, 0, v7
	v_cndmask_b32_e64 v7, 0, 1, vcc
	v_lshl_or_b32 v7, v7, 9, v2
	v_cvt_f64_f32_e32 v[9:10], v9
	v_cmp_eq_u32_e32 vcc, s11, v13
	v_cndmask_b32_e32 v7, v14, v7, vcc
	v_lshrrev_b32_e32 v8, 16, v8
	v_and_or_b32 v13, v8, s14, v7
	v_mul_f64 v[7:8], v[9:10], s[12:13]
	v_add_co_u32_e32 v5, vcc, s6, v5
	v_and_b32_e32 v9, 0xffff, v12
	v_addc_co_u32_e32 v6, vcc, v6, v3, vcc
	v_lshl_or_b32 v9, v13, 16, v9
	global_store_dword v[5:6], v9, off
	v_and_or_b32 v7, v8, s15, v7
	v_cmp_ne_u32_e32 vcc, 0, v7
	v_cndmask_b32_e64 v7, 0, 1, vcc
	v_lshrrev_b32_e32 v9, 8, v8
	v_bfe_u32 v10, v8, 20, 11
	v_and_or_b32 v7, v9, s10, v7
	v_sub_u32_e32 v12, 0x3f1, v10
	v_or_b32_e32 v9, 0x1000, v7
	v_med3_i32 v12, v12, 0, 13
	v_lshrrev_b32_e32 v13, v12, v9
	v_lshlrev_b32_e32 v12, v12, v13
	v_mul_f16_sdwa v11, v50, v11 dst_sel:DWORD dst_unused:UNUSED_PAD src0_sel:WORD_1 src1_sel:DWORD
	v_cmp_ne_u32_e32 vcc, v12, v9
	v_fma_f16 v11, v50, v15, -v11
	v_cndmask_b32_e64 v9, 0, 1, vcc
	v_add_u32_e32 v12, 0xfffffc10, v10
	v_cvt_f32_f16_e32 v11, v11
	v_or_b32_e32 v9, v13, v9
	v_lshl_or_b32 v10, v12, 12, v7
	v_cmp_gt_i32_e32 vcc, 1, v12
	v_cndmask_b32_e32 v9, v10, v9, vcc
	v_and_b32_e32 v10, 7, v9
	v_cmp_lt_i32_e32 vcc, 5, v10
	v_cmp_eq_u32_e64 s[2:3], 3, v10
	v_lshrrev_b32_e32 v13, 2, v9
	v_cvt_f64_f32_e32 v[9:10], v11
	s_or_b64 vcc, s[2:3], vcc
	v_addc_co_u32_e32 v11, vcc, 0, v13, vcc
	v_mul_f64 v[9:10], v[9:10], s[12:13]
	v_cmp_gt_i32_e32 vcc, 31, v12
	v_cndmask_b32_e32 v11, v2, v11, vcc
	v_cmp_ne_u32_e32 vcc, 0, v7
	v_cndmask_b32_e64 v7, 0, 1, vcc
	v_lshl_or_b32 v7, v7, 9, v2
	v_cmp_eq_u32_e32 vcc, s11, v12
	v_cndmask_b32_e32 v7, v11, v7, vcc
	v_lshrrev_b32_e32 v8, 16, v8
	v_and_or_b32 v13, v8, s14, v7
	v_and_or_b32 v7, v10, s15, v9
	v_cmp_ne_u32_e32 vcc, 0, v7
	v_cndmask_b32_e64 v7, 0, 1, vcc
	v_lshrrev_b32_e32 v8, 8, v10
	v_and_or_b32 v9, v8, s10, v7
	v_bfe_u32 v8, v10, 20, 11
	v_sub_u32_e32 v11, 0x3f1, v8
	v_or_b32_e32 v7, 0x1000, v9
	v_med3_i32 v11, v11, 0, 13
	v_lshrrev_b32_e32 v12, v11, v7
	v_lshlrev_b32_e32 v11, v11, v12
	v_cmp_ne_u32_e32 vcc, v11, v7
	v_cndmask_b32_e64 v7, 0, 1, vcc
	v_add_u32_e32 v14, 0xfffffc10, v8
	v_or_b32_e32 v7, v12, v7
	v_lshl_or_b32 v8, v14, 12, v9
	v_cmp_gt_i32_e32 vcc, 1, v14
	v_cndmask_b32_e32 v7, v8, v7, vcc
	v_and_b32_e32 v8, 7, v7
	v_cmp_lt_i32_e32 vcc, 5, v8
	v_cmp_eq_u32_e64 s[2:3], 3, v8
	v_lshrrev_b32_e32 v11, 2, v7
	ds_read2_b32 v[7:8], v43 offset0:102 offset1:153
	s_or_b64 vcc, s[2:3], vcc
	v_addc_co_u32_e32 v11, vcc, 0, v11, vcc
	v_cmp_gt_i32_e32 vcc, 31, v14
	s_waitcnt lgkmcnt(0)
	v_lshrrev_b32_e32 v16, 16, v7
	v_cndmask_b32_e32 v15, v2, v11, vcc
	v_mul_f16_sdwa v11, v49, v16 dst_sel:DWORD dst_unused:UNUSED_PAD src0_sel:WORD_1 src1_sel:DWORD
	v_fma_f16 v11, v49, v7, v11
	v_cvt_f32_f16_e32 v11, v11
	v_cmp_ne_u32_e32 vcc, 0, v9
	v_cndmask_b32_e64 v9, 0, 1, vcc
	v_lshl_or_b32 v9, v9, 9, v2
	v_cvt_f64_f32_e32 v[11:12], v11
	v_cmp_eq_u32_e32 vcc, s11, v14
	v_cndmask_b32_e32 v9, v15, v9, vcc
	v_lshrrev_b32_e32 v10, 16, v10
	v_and_or_b32 v14, v10, s14, v9
	v_mul_f64 v[9:10], v[11:12], s[12:13]
	v_add_co_u32_e32 v5, vcc, s6, v5
	v_and_b32_e32 v11, 0xffff, v13
	v_addc_co_u32_e32 v6, vcc, v6, v3, vcc
	v_lshl_or_b32 v11, v14, 16, v11
	global_store_dword v[5:6], v11, off
	v_and_or_b32 v9, v10, s15, v9
	v_cmp_ne_u32_e32 vcc, 0, v9
	v_cndmask_b32_e64 v9, 0, 1, vcc
	v_lshrrev_b32_e32 v11, 8, v10
	v_bfe_u32 v12, v10, 20, 11
	v_and_or_b32 v9, v11, s10, v9
	v_sub_u32_e32 v13, 0x3f1, v12
	v_or_b32_e32 v11, 0x1000, v9
	v_med3_i32 v13, v13, 0, 13
	v_lshrrev_b32_e32 v14, v13, v11
	v_lshlrev_b32_e32 v13, v13, v14
	v_mul_f16_sdwa v7, v49, v7 dst_sel:DWORD dst_unused:UNUSED_PAD src0_sel:WORD_1 src1_sel:DWORD
	v_cmp_ne_u32_e32 vcc, v13, v11
	v_fma_f16 v7, v49, v16, -v7
	v_cndmask_b32_e64 v11, 0, 1, vcc
	v_add_u32_e32 v13, 0xfffffc10, v12
	v_cvt_f32_f16_e32 v7, v7
	v_or_b32_e32 v11, v14, v11
	v_lshl_or_b32 v12, v13, 12, v9
	v_cmp_gt_i32_e32 vcc, 1, v13
	v_cndmask_b32_e32 v11, v12, v11, vcc
	v_and_b32_e32 v12, 7, v11
	v_cmp_lt_i32_e32 vcc, 5, v12
	v_cmp_eq_u32_e64 s[2:3], 3, v12
	v_lshrrev_b32_e32 v14, 2, v11
	v_cvt_f64_f32_e32 v[11:12], v7
	s_or_b64 vcc, s[2:3], vcc
	v_addc_co_u32_e32 v7, vcc, 0, v14, vcc
	v_mul_f64 v[11:12], v[11:12], s[12:13]
	v_cmp_gt_i32_e32 vcc, 31, v13
	v_cndmask_b32_e32 v7, v2, v7, vcc
	v_cmp_ne_u32_e32 vcc, 0, v9
	v_cndmask_b32_e64 v9, 0, 1, vcc
	v_lshl_or_b32 v9, v9, 9, v2
	v_cmp_eq_u32_e32 vcc, s11, v13
	v_cndmask_b32_e32 v7, v7, v9, vcc
	v_lshrrev_b32_e32 v9, 16, v10
	v_and_or_b32 v7, v9, s14, v7
	v_and_or_b32 v9, v12, s15, v11
	v_cmp_ne_u32_e32 vcc, 0, v9
	v_cndmask_b32_e64 v9, 0, 1, vcc
	v_lshrrev_b32_e32 v10, 8, v12
	v_and_or_b32 v11, v10, s10, v9
	v_bfe_u32 v10, v12, 20, 11
	v_sub_u32_e32 v13, 0x3f1, v10
	v_or_b32_e32 v9, 0x1000, v11
	v_med3_i32 v13, v13, 0, 13
	v_lshrrev_b32_e32 v14, v13, v9
	v_lshlrev_b32_e32 v13, v13, v14
	v_cmp_ne_u32_e32 vcc, v13, v9
	v_cndmask_b32_e64 v9, 0, 1, vcc
	v_add_u32_e32 v15, 0xfffffc10, v10
	v_or_b32_e32 v9, v14, v9
	v_lshl_or_b32 v10, v15, 12, v11
	v_cmp_gt_i32_e32 vcc, 1, v15
	v_cndmask_b32_e32 v9, v10, v9, vcc
	v_and_b32_e32 v10, 7, v9
	v_cmp_lt_i32_e32 vcc, 5, v10
	v_cmp_eq_u32_e64 s[2:3], 3, v10
	v_lshrrev_b32_e32 v13, 2, v9
	ds_read2_b32 v[9:10], v1 offset0:84 offset1:135
	s_or_b64 vcc, s[2:3], vcc
	v_addc_co_u32_e32 v1, vcc, 0, v13, vcc
	v_cmp_gt_i32_e32 vcc, 31, v15
	s_waitcnt lgkmcnt(0)
	v_lshrrev_b32_e32 v16, 16, v9
	v_mul_f16_sdwa v13, v48, v16 dst_sel:DWORD dst_unused:UNUSED_PAD src0_sel:WORD_1 src1_sel:DWORD
	v_fma_f16 v13, v48, v9, v13
	v_cvt_f32_f16_e32 v13, v13
	v_cndmask_b32_e32 v1, v2, v1, vcc
	v_cmp_ne_u32_e32 vcc, 0, v11
	v_cndmask_b32_e64 v11, 0, 1, vcc
	v_cvt_f64_f32_e32 v[13:14], v13
	v_lshl_or_b32 v11, v11, 9, v2
	v_cmp_eq_u32_e32 vcc, s11, v15
	v_cndmask_b32_e32 v1, v1, v11, vcc
	v_lshrrev_b32_e32 v11, 16, v12
	v_and_or_b32 v1, v11, s14, v1
	v_mul_f64 v[11:12], v[13:14], s[12:13]
	v_and_b32_e32 v7, 0xffff, v7
	v_add_co_u32_e32 v5, vcc, s4, v5
	v_lshl_or_b32 v1, v1, 16, v7
	v_addc_co_u32_e32 v6, vcc, v6, v4, vcc
	global_store_dword v[5:6], v1, off
	v_and_or_b32 v1, v12, s15, v11
	v_cmp_ne_u32_e32 vcc, 0, v1
	v_cndmask_b32_e64 v1, 0, 1, vcc
	v_lshrrev_b32_e32 v7, 8, v12
	v_bfe_u32 v11, v12, 20, 11
	v_and_or_b32 v1, v7, s10, v1
	v_sub_u32_e32 v13, 0x3f1, v11
	v_or_b32_e32 v7, 0x1000, v1
	v_med3_i32 v13, v13, 0, 13
	v_lshrrev_b32_e32 v14, v13, v7
	v_lshlrev_b32_e32 v13, v13, v14
	v_mul_f16_sdwa v9, v48, v9 dst_sel:DWORD dst_unused:UNUSED_PAD src0_sel:WORD_1 src1_sel:DWORD
	v_cmp_ne_u32_e32 vcc, v13, v7
	v_fma_f16 v9, v48, v16, -v9
	v_cndmask_b32_e64 v7, 0, 1, vcc
	v_add_u32_e32 v11, 0xfffffc10, v11
	v_cvt_f32_f16_e32 v9, v9
	v_or_b32_e32 v7, v14, v7
	v_lshl_or_b32 v13, v11, 12, v1
	v_cmp_gt_i32_e32 vcc, 1, v11
	v_cndmask_b32_e32 v7, v13, v7, vcc
	v_and_b32_e32 v13, 7, v7
	v_cmp_lt_i32_e32 vcc, 5, v13
	v_cmp_eq_u32_e64 s[2:3], 3, v13
	v_cvt_f64_f32_e32 v[13:14], v9
	v_lshrrev_b32_e32 v7, 2, v7
	s_or_b64 vcc, s[2:3], vcc
	v_addc_co_u32_e32 v7, vcc, 0, v7, vcc
	v_mul_f64 v[13:14], v[13:14], s[12:13]
	v_cmp_gt_i32_e32 vcc, 31, v11
	v_cndmask_b32_e32 v7, v2, v7, vcc
	v_cmp_ne_u32_e32 vcc, 0, v1
	v_cndmask_b32_e64 v1, 0, 1, vcc
	v_lshl_or_b32 v1, v1, 9, v2
	v_cmp_eq_u32_e32 vcc, s11, v11
	v_cndmask_b32_e32 v1, v7, v1, vcc
	v_lshrrev_b32_e32 v7, 16, v12
	v_and_or_b32 v7, v7, s14, v1
	v_and_or_b32 v1, v14, s15, v13
	v_cmp_ne_u32_e32 vcc, 0, v1
	v_cndmask_b32_e64 v1, 0, 1, vcc
	v_lshrrev_b32_e32 v9, 8, v14
	v_bfe_u32 v11, v14, 20, 11
	v_and_or_b32 v9, v9, s10, v1
	v_sub_u32_e32 v12, 0x3f1, v11
	v_or_b32_e32 v1, 0x1000, v9
	v_med3_i32 v12, v12, 0, 13
	v_lshrrev_b32_e32 v13, v12, v1
	v_lshlrev_b32_e32 v12, v12, v13
	v_cmp_ne_u32_e32 vcc, v12, v1
	v_cndmask_b32_e64 v1, 0, 1, vcc
	v_or_b32_e32 v1, v13, v1
	v_add_u32_e32 v13, 0xfffffc10, v11
	v_lshl_or_b32 v11, v13, 12, v9
	v_cmp_gt_i32_e32 vcc, 1, v13
	v_cndmask_b32_e32 v1, v11, v1, vcc
	v_and_b32_e32 v11, 7, v1
	v_cmp_lt_i32_e32 vcc, 5, v11
	v_cmp_eq_u32_e64 s[2:3], 3, v11
	v_lshrrev_b32_e32 v11, 2, v1
	ds_read2_b32 v[0:1], v0 offset0:66 offset1:117
	s_or_b64 vcc, s[2:3], vcc
	v_addc_co_u32_e32 v11, vcc, 0, v11, vcc
	v_cmp_gt_i32_e32 vcc, 31, v13
	s_waitcnt lgkmcnt(0)
	v_lshrrev_b32_e32 v16, 16, v0
	v_cndmask_b32_e32 v15, v2, v11, vcc
	v_mul_f16_sdwa v11, v47, v16 dst_sel:DWORD dst_unused:UNUSED_PAD src0_sel:WORD_1 src1_sel:DWORD
	v_fma_f16 v11, v47, v0, v11
	v_cvt_f32_f16_e32 v11, v11
	v_cmp_ne_u32_e32 vcc, 0, v9
	v_cndmask_b32_e64 v9, 0, 1, vcc
	v_lshl_or_b32 v9, v9, 9, v2
	v_cvt_f64_f32_e32 v[11:12], v11
	v_cmp_eq_u32_e32 vcc, s11, v13
	v_cndmask_b32_e32 v9, v15, v9, vcc
	v_lshrrev_b32_e32 v13, 16, v14
	v_mul_f64 v[11:12], v[11:12], s[12:13]
	v_and_or_b32 v9, v13, s14, v9
	v_and_b32_e32 v7, 0xffff, v7
	v_add_co_u32_e32 v5, vcc, s6, v5
	v_lshl_or_b32 v7, v9, 16, v7
	v_addc_co_u32_e32 v6, vcc, v6, v3, vcc
	global_store_dword v[5:6], v7, off
	v_and_or_b32 v7, v12, s15, v11
	v_cmp_ne_u32_e32 vcc, 0, v7
	v_cndmask_b32_e64 v7, 0, 1, vcc
	v_lshrrev_b32_e32 v9, 8, v12
	v_bfe_u32 v11, v12, 20, 11
	v_and_or_b32 v7, v9, s10, v7
	v_sub_u32_e32 v13, 0x3f1, v11
	v_or_b32_e32 v9, 0x1000, v7
	v_med3_i32 v13, v13, 0, 13
	v_lshrrev_b32_e32 v14, v13, v9
	v_lshlrev_b32_e32 v13, v13, v14
	v_mul_f16_sdwa v0, v47, v0 dst_sel:DWORD dst_unused:UNUSED_PAD src0_sel:WORD_1 src1_sel:DWORD
	v_cmp_ne_u32_e32 vcc, v13, v9
	v_fma_f16 v0, v47, v16, -v0
	v_cndmask_b32_e64 v9, 0, 1, vcc
	v_add_u32_e32 v11, 0xfffffc10, v11
	v_cvt_f32_f16_e32 v0, v0
	v_or_b32_e32 v9, v14, v9
	v_lshl_or_b32 v13, v11, 12, v7
	v_cmp_gt_i32_e32 vcc, 1, v11
	v_cndmask_b32_e32 v9, v13, v9, vcc
	v_and_b32_e32 v13, 7, v9
	v_cmp_lt_i32_e32 vcc, 5, v13
	v_cmp_eq_u32_e64 s[2:3], 3, v13
	v_cvt_f64_f32_e32 v[13:14], v0
	v_lshrrev_b32_e32 v9, 2, v9
	s_or_b64 vcc, s[2:3], vcc
	v_addc_co_u32_e32 v0, vcc, 0, v9, vcc
	v_mul_f64 v[13:14], v[13:14], s[12:13]
	v_cmp_gt_i32_e32 vcc, 31, v11
	v_cndmask_b32_e32 v0, v2, v0, vcc
	v_cmp_ne_u32_e32 vcc, 0, v7
	v_cndmask_b32_e64 v7, 0, 1, vcc
	v_lshl_or_b32 v7, v7, 9, v2
	v_cmp_eq_u32_e32 vcc, s11, v11
	v_cndmask_b32_e32 v0, v0, v7, vcc
	v_lshrrev_b32_e32 v7, 16, v12
	v_and_or_b32 v0, v7, s14, v0
	v_and_or_b32 v7, v14, s15, v13
	v_cmp_ne_u32_e32 vcc, 0, v7
	v_cndmask_b32_e64 v7, 0, 1, vcc
	v_lshrrev_b32_e32 v9, 8, v14
	v_bfe_u32 v11, v14, 20, 11
	v_and_or_b32 v7, v9, s10, v7
	v_sub_u32_e32 v12, 0x3f1, v11
	v_or_b32_e32 v9, 0x1000, v7
	v_med3_i32 v12, v12, 0, 13
	v_lshrrev_b32_e32 v13, v12, v9
	v_lshlrev_b32_e32 v12, v12, v13
	v_cmp_ne_u32_e32 vcc, v12, v9
	v_cndmask_b32_e64 v9, 0, 1, vcc
	v_or_b32_e32 v9, v13, v9
	v_add_u32_e32 v13, 0xfffffc10, v11
	v_lshl_or_b32 v11, v13, 12, v7
	v_cmp_gt_i32_e32 vcc, 1, v13
	v_cndmask_b32_e32 v9, v11, v9, vcc
	v_and_b32_e32 v11, 7, v9
	v_lshrrev_b32_e32 v15, 16, v8
	v_cmp_lt_i32_e32 vcc, 5, v11
	v_cmp_eq_u32_e64 s[2:3], 3, v11
	v_mul_f16_sdwa v11, v46, v15 dst_sel:DWORD dst_unused:UNUSED_PAD src0_sel:WORD_1 src1_sel:DWORD
	v_fma_f16 v11, v46, v8, v11
	v_cvt_f32_f16_e32 v11, v11
	v_lshrrev_b32_e32 v9, 2, v9
	s_or_b64 vcc, s[2:3], vcc
	v_addc_co_u32_e32 v9, vcc, 0, v9, vcc
	v_cvt_f64_f32_e32 v[11:12], v11
	v_cmp_gt_i32_e32 vcc, 31, v13
	v_cndmask_b32_e32 v9, v2, v9, vcc
	v_cmp_ne_u32_e32 vcc, 0, v7
	v_mul_f64 v[11:12], v[11:12], s[12:13]
	v_cndmask_b32_e64 v7, 0, 1, vcc
	v_lshl_or_b32 v7, v7, 9, v2
	v_cmp_eq_u32_e32 vcc, s11, v13
	v_cndmask_b32_e32 v7, v9, v7, vcc
	v_lshrrev_b32_e32 v9, 16, v14
	v_and_or_b32 v7, v9, s14, v7
	v_and_b32_e32 v0, 0xffff, v0
	v_add_co_u32_e32 v5, vcc, s6, v5
	v_lshl_or_b32 v0, v7, 16, v0
	v_addc_co_u32_e32 v6, vcc, v6, v3, vcc
	global_store_dword v[5:6], v0, off
	v_and_or_b32 v0, v12, s15, v11
	v_cmp_ne_u32_e32 vcc, 0, v0
	v_cndmask_b32_e64 v0, 0, 1, vcc
	v_lshrrev_b32_e32 v7, 8, v12
	v_bfe_u32 v9, v12, 20, 11
	v_and_or_b32 v0, v7, s10, v0
	v_sub_u32_e32 v11, 0x3f1, v9
	v_or_b32_e32 v7, 0x1000, v0
	v_med3_i32 v11, v11, 0, 13
	v_lshrrev_b32_e32 v13, v11, v7
	v_lshlrev_b32_e32 v11, v11, v13
	v_mul_f16_sdwa v8, v46, v8 dst_sel:DWORD dst_unused:UNUSED_PAD src0_sel:WORD_1 src1_sel:DWORD
	v_cmp_ne_u32_e32 vcc, v11, v7
	v_fma_f16 v8, v46, v15, -v8
	v_cndmask_b32_e64 v7, 0, 1, vcc
	v_add_u32_e32 v9, 0xfffffc10, v9
	v_cvt_f32_f16_e32 v8, v8
	v_or_b32_e32 v7, v13, v7
	v_lshl_or_b32 v11, v9, 12, v0
	v_cmp_gt_i32_e32 vcc, 1, v9
	v_cndmask_b32_e32 v7, v11, v7, vcc
	v_and_b32_e32 v11, 7, v7
	v_cmp_lt_i32_e32 vcc, 5, v11
	v_cmp_eq_u32_e64 s[2:3], 3, v11
	v_lshrrev_b32_e32 v11, 2, v7
	v_cvt_f64_f32_e32 v[7:8], v8
	s_or_b64 vcc, s[2:3], vcc
	v_addc_co_u32_e32 v11, vcc, 0, v11, vcc
	v_mul_f64 v[7:8], v[7:8], s[12:13]
	v_cmp_gt_i32_e32 vcc, 31, v9
	v_cndmask_b32_e32 v11, v2, v11, vcc
	v_cmp_ne_u32_e32 vcc, 0, v0
	v_cndmask_b32_e64 v0, 0, 1, vcc
	v_lshl_or_b32 v0, v0, 9, v2
	v_cmp_eq_u32_e32 vcc, s11, v9
	v_cndmask_b32_e32 v0, v11, v0, vcc
	v_and_or_b32 v7, v8, s15, v7
	v_lshrrev_b32_e32 v9, 16, v12
	v_cmp_ne_u32_e32 vcc, 0, v7
	v_and_or_b32 v0, v9, s14, v0
	v_cndmask_b32_e64 v7, 0, 1, vcc
	v_lshrrev_b32_e32 v9, 8, v8
	v_bfe_u32 v11, v8, 20, 11
	v_and_or_b32 v7, v9, s10, v7
	v_sub_u32_e32 v12, 0x3f1, v11
	v_or_b32_e32 v9, 0x1000, v7
	v_med3_i32 v12, v12, 0, 13
	v_lshrrev_b32_e32 v13, v12, v9
	v_lshlrev_b32_e32 v12, v12, v13
	v_cmp_ne_u32_e32 vcc, v12, v9
	v_cndmask_b32_e64 v9, 0, 1, vcc
	v_or_b32_e32 v9, v13, v9
	v_add_u32_e32 v13, 0xfffffc10, v11
	v_lshl_or_b32 v11, v13, 12, v7
	v_cmp_gt_i32_e32 vcc, 1, v13
	v_cndmask_b32_e32 v9, v11, v9, vcc
	v_and_b32_e32 v11, 7, v9
	v_lshrrev_b32_e32 v14, 16, v10
	v_cmp_lt_i32_e32 vcc, 5, v11
	v_cmp_eq_u32_e64 s[2:3], 3, v11
	v_mul_f16_sdwa v11, v45, v14 dst_sel:DWORD dst_unused:UNUSED_PAD src0_sel:WORD_1 src1_sel:DWORD
	v_fma_f16 v11, v45, v10, v11
	v_cvt_f32_f16_e32 v11, v11
	v_lshrrev_b32_e32 v9, 2, v9
	s_or_b64 vcc, s[2:3], vcc
	v_addc_co_u32_e32 v9, vcc, 0, v9, vcc
	v_cmp_gt_i32_e32 vcc, 31, v13
	v_cndmask_b32_e32 v9, v2, v9, vcc
	v_cmp_ne_u32_e32 vcc, 0, v7
	v_cvt_f64_f32_e32 v[11:12], v11
	v_cndmask_b32_e64 v7, 0, 1, vcc
	v_lshl_or_b32 v7, v7, 9, v2
	v_cmp_eq_u32_e32 vcc, s11, v13
	v_cndmask_b32_e32 v7, v9, v7, vcc
	v_lshrrev_b32_e32 v8, 16, v8
	v_and_or_b32 v9, v8, s14, v7
	v_mul_f64 v[7:8], v[11:12], s[12:13]
	v_and_b32_e32 v0, 0xffff, v0
	v_add_co_u32_e32 v5, vcc, s4, v5
	v_lshl_or_b32 v0, v9, 16, v0
	v_addc_co_u32_e32 v6, vcc, v6, v4, vcc
	global_store_dword v[5:6], v0, off
	v_and_or_b32 v0, v8, s15, v7
	v_cmp_ne_u32_e32 vcc, 0, v0
	v_cndmask_b32_e64 v0, 0, 1, vcc
	v_lshrrev_b32_e32 v4, 8, v8
	v_bfe_u32 v7, v8, 20, 11
	v_and_or_b32 v0, v4, s10, v0
	v_sub_u32_e32 v9, 0x3f1, v7
	v_or_b32_e32 v4, 0x1000, v0
	v_med3_i32 v9, v9, 0, 13
	v_lshrrev_b32_e32 v11, v9, v4
	v_lshlrev_b32_e32 v9, v9, v11
	v_mul_f16_sdwa v10, v45, v10 dst_sel:DWORD dst_unused:UNUSED_PAD src0_sel:WORD_1 src1_sel:DWORD
	v_cmp_ne_u32_e32 vcc, v9, v4
	v_fma_f16 v10, v45, v14, -v10
	v_cndmask_b32_e64 v4, 0, 1, vcc
	v_add_u32_e32 v7, 0xfffffc10, v7
	v_cvt_f32_f16_e32 v10, v10
	v_or_b32_e32 v4, v11, v4
	v_lshl_or_b32 v9, v7, 12, v0
	v_cmp_gt_i32_e32 vcc, 1, v7
	v_cndmask_b32_e32 v4, v9, v4, vcc
	v_and_b32_e32 v9, 7, v4
	v_cmp_lt_i32_e32 vcc, 5, v9
	v_cmp_eq_u32_e64 s[2:3], 3, v9
	v_cvt_f64_f32_e32 v[9:10], v10
	v_lshrrev_b32_e32 v4, 2, v4
	s_or_b64 vcc, s[2:3], vcc
	v_addc_co_u32_e32 v4, vcc, 0, v4, vcc
	v_mul_f64 v[9:10], v[9:10], s[12:13]
	v_cmp_gt_i32_e32 vcc, 31, v7
	v_cndmask_b32_e32 v4, v2, v4, vcc
	v_cmp_ne_u32_e32 vcc, 0, v0
	v_cndmask_b32_e64 v0, 0, 1, vcc
	v_lshl_or_b32 v0, v0, 9, v2
	v_cmp_eq_u32_e32 vcc, s11, v7
	v_cndmask_b32_e32 v0, v4, v0, vcc
	v_lshrrev_b32_e32 v4, 16, v8
	v_and_or_b32 v0, v4, s14, v0
	v_and_or_b32 v4, v10, s15, v9
	v_cmp_ne_u32_e32 vcc, 0, v4
	v_cndmask_b32_e64 v4, 0, 1, vcc
	v_lshrrev_b32_e32 v7, 8, v10
	v_bfe_u32 v8, v10, 20, 11
	v_and_or_b32 v4, v7, s10, v4
	v_sub_u32_e32 v9, 0x3f1, v8
	v_or_b32_e32 v7, 0x1000, v4
	v_med3_i32 v9, v9, 0, 13
	v_lshrrev_b32_e32 v11, v9, v7
	v_lshlrev_b32_e32 v9, v9, v11
	v_cmp_ne_u32_e32 vcc, v9, v7
	v_cndmask_b32_e64 v7, 0, 1, vcc
	v_add_u32_e32 v9, 0xfffffc10, v8
	v_or_b32_e32 v7, v11, v7
	v_lshl_or_b32 v8, v9, 12, v4
	v_cmp_gt_i32_e32 vcc, 1, v9
	v_cndmask_b32_e32 v7, v8, v7, vcc
	v_and_b32_e32 v8, 7, v7
	v_cmp_lt_i32_e32 vcc, 5, v8
	v_cmp_eq_u32_e64 s[2:3], 3, v8
	v_lshrrev_b32_e32 v7, 2, v7
	s_or_b64 vcc, s[2:3], vcc
	v_addc_co_u32_e32 v7, vcc, 0, v7, vcc
	v_cmp_gt_i32_e32 vcc, 31, v9
	v_lshrrev_b32_e32 v12, 16, v1
	v_cndmask_b32_e32 v11, v2, v7, vcc
	v_mul_f16_sdwa v7, v44, v12 dst_sel:DWORD dst_unused:UNUSED_PAD src0_sel:WORD_1 src1_sel:DWORD
	v_fma_f16 v7, v44, v1, v7
	v_cvt_f32_f16_e32 v7, v7
	v_cmp_ne_u32_e32 vcc, 0, v4
	v_cndmask_b32_e64 v4, 0, 1, vcc
	v_lshl_or_b32 v4, v4, 9, v2
	v_cvt_f64_f32_e32 v[7:8], v7
	v_cmp_eq_u32_e32 vcc, s11, v9
	v_cndmask_b32_e32 v4, v11, v4, vcc
	v_lshrrev_b32_e32 v9, 16, v10
	v_mul_f64 v[7:8], v[7:8], s[12:13]
	v_and_or_b32 v4, v9, s14, v4
	v_and_b32_e32 v0, 0xffff, v0
	v_lshl_or_b32 v0, v4, 16, v0
	v_add_co_u32_e32 v4, vcc, s6, v5
	v_addc_co_u32_e32 v5, vcc, v6, v3, vcc
	global_store_dword v[4:5], v0, off
	v_and_or_b32 v0, v8, s15, v7
	v_cmp_ne_u32_e32 vcc, 0, v0
	v_cndmask_b32_e64 v0, 0, 1, vcc
	v_lshrrev_b32_e32 v6, 8, v8
	v_bfe_u32 v7, v8, 20, 11
	v_and_or_b32 v6, v6, s10, v0
	v_sub_u32_e32 v9, 0x3f1, v7
	v_or_b32_e32 v0, 0x1000, v6
	v_med3_i32 v9, v9, 0, 13
	v_lshrrev_b32_e32 v10, v9, v0
	v_lshlrev_b32_e32 v9, v9, v10
	v_mul_f16_sdwa v1, v44, v1 dst_sel:DWORD dst_unused:UNUSED_PAD src0_sel:WORD_1 src1_sel:DWORD
	v_cmp_ne_u32_e32 vcc, v9, v0
	v_fma_f16 v1, v44, v12, -v1
	v_cndmask_b32_e64 v0, 0, 1, vcc
	v_add_u32_e32 v7, 0xfffffc10, v7
	v_cvt_f32_f16_e32 v1, v1
	v_or_b32_e32 v0, v10, v0
	v_lshl_or_b32 v9, v7, 12, v6
	v_cmp_gt_i32_e32 vcc, 1, v7
	v_cndmask_b32_e32 v0, v9, v0, vcc
	v_and_b32_e32 v9, 7, v0
	v_cmp_lt_i32_e32 vcc, 5, v9
	v_cmp_eq_u32_e64 s[2:3], 3, v9
	v_lshrrev_b32_e32 v9, 2, v0
	v_cvt_f64_f32_e32 v[0:1], v1
	s_or_b64 vcc, s[2:3], vcc
	v_addc_co_u32_e32 v9, vcc, 0, v9, vcc
	v_mul_f64 v[0:1], v[0:1], s[12:13]
	v_cmp_gt_i32_e32 vcc, 31, v7
	v_cndmask_b32_e32 v9, v2, v9, vcc
	v_cmp_ne_u32_e32 vcc, 0, v6
	v_cndmask_b32_e64 v6, 0, 1, vcc
	v_lshl_or_b32 v6, v6, 9, v2
	v_cmp_eq_u32_e32 vcc, s11, v7
	v_cndmask_b32_e32 v6, v9, v6, vcc
	v_and_or_b32 v0, v1, s15, v0
	v_lshrrev_b32_e32 v7, 16, v8
	v_cmp_ne_u32_e32 vcc, 0, v0
	v_and_or_b32 v6, v7, s14, v6
	v_cndmask_b32_e64 v0, 0, 1, vcc
	v_lshrrev_b32_e32 v7, 8, v1
	v_bfe_u32 v8, v1, 20, 11
	v_and_or_b32 v0, v7, s10, v0
	v_sub_u32_e32 v9, 0x3f1, v8
	v_or_b32_e32 v7, 0x1000, v0
	v_med3_i32 v9, v9, 0, 13
	v_lshrrev_b32_e32 v10, v9, v7
	v_lshlrev_b32_e32 v9, v9, v10
	v_cmp_ne_u32_e32 vcc, v9, v7
	v_cndmask_b32_e64 v7, 0, 1, vcc
	v_add_u32_e32 v8, 0xfffffc10, v8
	v_or_b32_e32 v7, v10, v7
	v_lshl_or_b32 v9, v8, 12, v0
	v_cmp_gt_i32_e32 vcc, 1, v8
	v_cndmask_b32_e32 v7, v9, v7, vcc
	v_and_b32_e32 v9, 7, v7
	v_cmp_lt_i32_e32 vcc, 5, v9
	v_cmp_eq_u32_e64 s[2:3], 3, v9
	v_lshrrev_b32_e32 v7, 2, v7
	s_or_b64 vcc, s[2:3], vcc
	v_addc_co_u32_e32 v7, vcc, 0, v7, vcc
	v_cmp_gt_i32_e32 vcc, 31, v8
	v_cndmask_b32_e32 v7, v2, v7, vcc
	v_cmp_ne_u32_e32 vcc, 0, v0
	v_cndmask_b32_e64 v0, 0, 1, vcc
	v_lshl_or_b32 v0, v0, 9, v2
	v_cmp_eq_u32_e32 vcc, s11, v8
	v_cndmask_b32_e32 v0, v7, v0, vcc
	v_lshrrev_b32_e32 v1, 16, v1
	v_and_or_b32 v0, v1, s14, v0
	v_and_b32_e32 v1, 0xffff, v6
	v_lshl_or_b32 v6, v0, 16, v1
	v_add_co_u32_e32 v0, vcc, s6, v4
	v_addc_co_u32_e32 v1, vcc, v5, v3, vcc
	global_store_dword v[0:1], v6, off
	s_and_b64 exec, exec, s[0:1]
	s_cbranch_execz .LBB0_23
; %bb.22:
	global_load_dword v5, v[20:21], off offset:816
	v_add_u32_e32 v3, 0x300, v43
	ds_read2_b32 v[3:4], v3 offset0:12 offset1:250
	v_add_co_u32_e32 v0, vcc, s4, v0
	s_waitcnt lgkmcnt(0)
	v_lshrrev_b32_e32 v6, 16, v3
	s_waitcnt vmcnt(0)
	v_mul_f16_sdwa v7, v6, v5 dst_sel:DWORD dst_unused:UNUSED_PAD src0_sel:DWORD src1_sel:WORD_1
	v_fma_f16 v7, v3, v5, v7
	v_mul_f16_sdwa v3, v3, v5 dst_sel:DWORD dst_unused:UNUSED_PAD src0_sel:DWORD src1_sel:WORD_1
	v_cvt_f32_f16_e32 v7, v7
	v_fma_f16 v3, v5, v6, -v3
	v_cvt_f32_f16_e32 v3, v3
	v_cvt_f64_f32_e32 v[5:6], v7
	v_cvt_f64_f32_e32 v[7:8], v3
	v_mov_b32_e32 v3, s5
	v_mul_f64 v[5:6], v[5:6], s[12:13]
	v_addc_co_u32_e32 v1, vcc, v1, v3, vcc
	v_mul_f64 v[7:8], v[7:8], s[12:13]
	v_and_or_b32 v3, v6, s15, v5
	v_cmp_ne_u32_e32 vcc, 0, v3
	v_lshrrev_b32_e32 v5, 8, v6
	v_and_or_b32 v7, v8, s15, v7
	v_bfe_u32 v9, v6, 20, 11
	v_cndmask_b32_e64 v3, 0, 1, vcc
	v_cmp_ne_u32_e32 vcc, 0, v7
	v_lshrrev_b32_e32 v10, 8, v8
	v_bfe_u32 v11, v8, 20, 11
	v_sub_u32_e32 v12, 0x3f1, v9
	v_cndmask_b32_e64 v7, 0, 1, vcc
	v_and_or_b32 v3, v5, s10, v3
	v_sub_u32_e32 v13, 0x3f1, v11
	v_med3_i32 v5, v12, 0, 13
	v_and_or_b32 v7, v10, s10, v7
	v_or_b32_e32 v12, 0x1000, v3
	v_add_u32_e32 v9, 0xfffffc10, v9
	v_med3_i32 v10, v13, 0, 13
	v_cmp_ne_u32_e32 vcc, 0, v3
	v_or_b32_e32 v14, 0x1000, v7
	v_lshrrev_b32_e32 v16, v5, v12
	v_add_u32_e32 v11, 0xfffffc10, v11
	v_lshl_or_b32 v13, v9, 12, v3
	v_cndmask_b32_e64 v3, 0, 1, vcc
	v_cmp_ne_u32_e32 vcc, 0, v7
	v_lshrrev_b32_e32 v17, v10, v14
	v_lshlrev_b32_e32 v5, v5, v16
	v_lshl_or_b32 v15, v11, 12, v7
	v_cndmask_b32_e64 v7, 0, 1, vcc
	v_lshlrev_b32_e32 v10, v10, v17
	v_cmp_ne_u32_e32 vcc, v5, v12
	v_cndmask_b32_e64 v5, 0, 1, vcc
	v_cmp_ne_u32_e32 vcc, v10, v14
	v_cndmask_b32_e64 v10, 0, 1, vcc
	v_or_b32_e32 v5, v16, v5
	v_cmp_gt_i32_e32 vcc, 1, v9
	v_cndmask_b32_e32 v5, v13, v5, vcc
	v_or_b32_e32 v10, v17, v10
	v_cmp_gt_i32_e32 vcc, 1, v11
	v_and_b32_e32 v12, 7, v5
	v_cndmask_b32_e32 v10, v15, v10, vcc
	v_cmp_lt_i32_e32 vcc, 5, v12
	v_cmp_eq_u32_e64 s[0:1], 3, v12
	v_lshrrev_b32_e32 v5, 2, v5
	v_and_b32_e32 v13, 7, v10
	s_or_b64 vcc, s[0:1], vcc
	v_cmp_lt_i32_e64 s[2:3], 5, v13
	v_cmp_eq_u32_e64 s[4:5], 3, v13
	v_addc_co_u32_e32 v5, vcc, 0, v5, vcc
	v_lshrrev_b32_e32 v10, 2, v10
	s_or_b64 vcc, s[4:5], s[2:3]
	v_addc_co_u32_e32 v10, vcc, 0, v10, vcc
	v_cmp_gt_i32_e32 vcc, 31, v9
	v_cndmask_b32_e32 v5, v2, v5, vcc
	v_cmp_gt_i32_e32 vcc, 31, v11
	v_lshl_or_b32 v3, v3, 9, v2
	v_cndmask_b32_e32 v10, v2, v10, vcc
	v_cmp_eq_u32_e32 vcc, s11, v9
	v_lshrrev_b32_e32 v6, 16, v6
	v_lshl_or_b32 v7, v7, 9, v2
	v_cndmask_b32_e32 v3, v5, v3, vcc
	v_cmp_eq_u32_e32 vcc, s11, v11
	v_lshrrev_b32_e32 v8, 16, v8
	v_cndmask_b32_e32 v5, v10, v7, vcc
	v_and_or_b32 v3, v6, s14, v3
	v_and_or_b32 v5, v8, s14, v5
	v_and_b32_e32 v3, 0xffff, v3
	v_lshl_or_b32 v3, v5, 16, v3
	global_store_dword v[0:1], v3, off
	global_load_dword v3, v[20:21], off offset:1768
	v_lshrrev_b32_e32 v5, 16, v4
	v_mov_b32_e32 v7, s7
	v_add_co_u32_e32 v0, vcc, s6, v0
	v_addc_co_u32_e32 v1, vcc, v1, v7, vcc
	s_waitcnt vmcnt(0)
	v_mul_f16_sdwa v6, v5, v3 dst_sel:DWORD dst_unused:UNUSED_PAD src0_sel:DWORD src1_sel:WORD_1
	v_fma_f16 v6, v4, v3, v6
	v_mul_f16_sdwa v4, v4, v3 dst_sel:DWORD dst_unused:UNUSED_PAD src0_sel:DWORD src1_sel:WORD_1
	v_cvt_f32_f16_e32 v6, v6
	v_fma_f16 v3, v3, v5, -v4
	v_cvt_f32_f16_e32 v5, v3
	v_cvt_f64_f32_e32 v[3:4], v6
	v_cvt_f64_f32_e32 v[5:6], v5
	v_mul_f64 v[3:4], v[3:4], s[12:13]
	v_mul_f64 v[5:6], v[5:6], s[12:13]
	v_and_or_b32 v3, v4, s15, v3
	v_cmp_ne_u32_e32 vcc, 0, v3
	v_and_or_b32 v5, v6, s15, v5
	v_lshrrev_b32_e32 v8, 8, v4
	v_bfe_u32 v9, v4, 20, 11
	v_cndmask_b32_e64 v3, 0, 1, vcc
	v_cmp_ne_u32_e32 vcc, 0, v5
	v_lshrrev_b32_e32 v10, 8, v6
	v_bfe_u32 v11, v6, 20, 11
	v_sub_u32_e32 v12, 0x3f1, v9
	v_cndmask_b32_e64 v5, 0, 1, vcc
	v_and_or_b32 v3, v8, s10, v3
	v_sub_u32_e32 v13, 0x3f1, v11
	v_med3_i32 v8, v12, 0, 13
	v_and_or_b32 v5, v10, s10, v5
	v_or_b32_e32 v12, 0x1000, v3
	v_add_u32_e32 v9, 0xfffffc10, v9
	v_med3_i32 v10, v13, 0, 13
	v_cmp_ne_u32_e32 vcc, 0, v3
	v_or_b32_e32 v14, 0x1000, v5
	v_lshrrev_b32_e32 v16, v8, v12
	v_add_u32_e32 v11, 0xfffffc10, v11
	v_lshl_or_b32 v13, v9, 12, v3
	v_cndmask_b32_e64 v3, 0, 1, vcc
	v_cmp_ne_u32_e32 vcc, 0, v5
	v_lshrrev_b32_e32 v17, v10, v14
	v_lshlrev_b32_e32 v8, v8, v16
	v_lshl_or_b32 v15, v11, 12, v5
	v_cndmask_b32_e64 v5, 0, 1, vcc
	v_lshlrev_b32_e32 v10, v10, v17
	v_cmp_ne_u32_e32 vcc, v8, v12
	v_cndmask_b32_e64 v8, 0, 1, vcc
	v_cmp_ne_u32_e32 vcc, v10, v14
	v_cndmask_b32_e64 v10, 0, 1, vcc
	v_or_b32_e32 v8, v16, v8
	v_cmp_gt_i32_e32 vcc, 1, v9
	v_cndmask_b32_e32 v8, v13, v8, vcc
	v_or_b32_e32 v10, v17, v10
	v_cmp_gt_i32_e32 vcc, 1, v11
	v_and_b32_e32 v12, 7, v8
	v_cndmask_b32_e32 v10, v15, v10, vcc
	v_cmp_lt_i32_e32 vcc, 5, v12
	v_cmp_eq_u32_e64 s[0:1], 3, v12
	v_lshrrev_b32_e32 v8, 2, v8
	v_and_b32_e32 v13, 7, v10
	s_or_b64 vcc, s[0:1], vcc
	v_cmp_lt_i32_e64 s[2:3], 5, v13
	v_cmp_eq_u32_e64 s[4:5], 3, v13
	v_addc_co_u32_e32 v8, vcc, 0, v8, vcc
	v_lshrrev_b32_e32 v10, 2, v10
	s_or_b64 vcc, s[4:5], s[2:3]
	v_addc_co_u32_e32 v10, vcc, 0, v10, vcc
	v_cmp_gt_i32_e32 vcc, 31, v9
	v_cndmask_b32_e32 v8, v2, v8, vcc
	v_cmp_gt_i32_e32 vcc, 31, v11
	v_lshl_or_b32 v3, v3, 9, v2
	v_cndmask_b32_e32 v10, v2, v10, vcc
	v_cmp_eq_u32_e32 vcc, s11, v9
	v_lshrrev_b32_e32 v4, 16, v4
	v_lshl_or_b32 v5, v5, 9, v2
	v_cndmask_b32_e32 v3, v8, v3, vcc
	v_cmp_eq_u32_e32 vcc, s11, v11
	v_lshrrev_b32_e32 v6, 16, v6
	v_cndmask_b32_e32 v5, v10, v5, vcc
	v_and_or_b32 v3, v4, s14, v3
	v_and_or_b32 v4, v6, s14, v5
	v_and_b32_e32 v3, 0xffff, v3
	v_lshl_or_b32 v3, v4, 16, v3
	global_store_dword v[0:1], v3, off
	global_load_dword v3, v[20:21], off offset:2720
	ds_read_b32 v4, v43 offset:2720
	s_waitcnt lgkmcnt(0)
	v_lshrrev_b32_e32 v5, 16, v4
	s_waitcnt vmcnt(0)
	v_mul_f16_sdwa v6, v5, v3 dst_sel:DWORD dst_unused:UNUSED_PAD src0_sel:DWORD src1_sel:WORD_1
	v_fma_f16 v6, v4, v3, v6
	v_mul_f16_sdwa v4, v4, v3 dst_sel:DWORD dst_unused:UNUSED_PAD src0_sel:DWORD src1_sel:WORD_1
	v_cvt_f32_f16_e32 v6, v6
	v_fma_f16 v3, v3, v5, -v4
	v_cvt_f32_f16_e32 v5, v3
	v_cvt_f64_f32_e32 v[3:4], v6
	v_cvt_f64_f32_e32 v[5:6], v5
	v_mul_f64 v[3:4], v[3:4], s[12:13]
	v_mul_f64 v[5:6], v[5:6], s[12:13]
	v_and_or_b32 v3, v4, s15, v3
	v_cmp_ne_u32_e32 vcc, 0, v3
	v_and_or_b32 v5, v6, s15, v5
	v_lshrrev_b32_e32 v8, 8, v4
	v_bfe_u32 v9, v4, 20, 11
	v_cndmask_b32_e64 v3, 0, 1, vcc
	v_cmp_ne_u32_e32 vcc, 0, v5
	v_lshrrev_b32_e32 v10, 8, v6
	v_bfe_u32 v11, v6, 20, 11
	v_sub_u32_e32 v12, 0x3f1, v9
	v_cndmask_b32_e64 v5, 0, 1, vcc
	v_and_or_b32 v3, v8, s10, v3
	v_sub_u32_e32 v13, 0x3f1, v11
	v_med3_i32 v8, v12, 0, 13
	v_and_or_b32 v5, v10, s10, v5
	v_or_b32_e32 v12, 0x1000, v3
	v_add_u32_e32 v9, 0xfffffc10, v9
	v_med3_i32 v10, v13, 0, 13
	v_cmp_ne_u32_e32 vcc, 0, v3
	v_or_b32_e32 v14, 0x1000, v5
	v_lshrrev_b32_e32 v16, v8, v12
	v_add_u32_e32 v11, 0xfffffc10, v11
	v_lshl_or_b32 v13, v9, 12, v3
	v_cndmask_b32_e64 v3, 0, 1, vcc
	v_cmp_ne_u32_e32 vcc, 0, v5
	v_lshrrev_b32_e32 v17, v10, v14
	v_lshlrev_b32_e32 v8, v8, v16
	v_lshl_or_b32 v15, v11, 12, v5
	v_cndmask_b32_e64 v5, 0, 1, vcc
	v_lshlrev_b32_e32 v10, v10, v17
	v_cmp_ne_u32_e32 vcc, v8, v12
	v_cndmask_b32_e64 v8, 0, 1, vcc
	v_cmp_ne_u32_e32 vcc, v10, v14
	v_cndmask_b32_e64 v10, 0, 1, vcc
	v_or_b32_e32 v8, v16, v8
	v_cmp_gt_i32_e32 vcc, 1, v9
	v_cndmask_b32_e32 v8, v13, v8, vcc
	v_or_b32_e32 v10, v17, v10
	v_cmp_gt_i32_e32 vcc, 1, v11
	v_and_b32_e32 v12, 7, v8
	v_cndmask_b32_e32 v10, v15, v10, vcc
	v_cmp_lt_i32_e32 vcc, 5, v12
	v_cmp_eq_u32_e64 s[0:1], 3, v12
	v_lshrrev_b32_e32 v8, 2, v8
	v_and_b32_e32 v13, 7, v10
	s_or_b64 vcc, s[0:1], vcc
	v_cmp_lt_i32_e64 s[2:3], 5, v13
	v_cmp_eq_u32_e64 s[4:5], 3, v13
	v_addc_co_u32_e32 v8, vcc, 0, v8, vcc
	v_lshrrev_b32_e32 v10, 2, v10
	s_or_b64 vcc, s[4:5], s[2:3]
	v_addc_co_u32_e32 v10, vcc, 0, v10, vcc
	v_cmp_gt_i32_e32 vcc, 31, v9
	v_cndmask_b32_e32 v8, v2, v8, vcc
	v_cmp_gt_i32_e32 vcc, 31, v11
	v_lshl_or_b32 v3, v3, 9, v2
	v_lshl_or_b32 v5, v5, 9, v2
	v_cndmask_b32_e32 v2, v2, v10, vcc
	v_cmp_eq_u32_e32 vcc, s11, v9
	v_lshrrev_b32_e32 v4, 16, v4
	v_cndmask_b32_e32 v3, v8, v3, vcc
	v_cmp_eq_u32_e32 vcc, s11, v11
	v_lshrrev_b32_e32 v6, 16, v6
	v_cndmask_b32_e32 v2, v2, v5, vcc
	v_and_or_b32 v3, v4, s14, v3
	v_and_or_b32 v2, v6, s14, v2
	v_and_b32_e32 v3, 0xffff, v3
	v_add_co_u32_e32 v0, vcc, s6, v0
	v_lshl_or_b32 v2, v2, 16, v3
	v_addc_co_u32_e32 v1, vcc, v1, v7, vcc
	global_store_dword v[0:1], v2, off
.LBB0_23:
	s_endpgm
	.section	.rodata,"a",@progbits
	.p2align	6, 0x0
	.amdhsa_kernel bluestein_single_back_len714_dim1_half_op_CI_CI
		.amdhsa_group_segment_fixed_size 2856
		.amdhsa_private_segment_fixed_size 104
		.amdhsa_kernarg_size 104
		.amdhsa_user_sgpr_count 6
		.amdhsa_user_sgpr_private_segment_buffer 1
		.amdhsa_user_sgpr_dispatch_ptr 0
		.amdhsa_user_sgpr_queue_ptr 0
		.amdhsa_user_sgpr_kernarg_segment_ptr 1
		.amdhsa_user_sgpr_dispatch_id 0
		.amdhsa_user_sgpr_flat_scratch_init 0
		.amdhsa_user_sgpr_private_segment_size 0
		.amdhsa_uses_dynamic_stack 0
		.amdhsa_system_sgpr_private_segment_wavefront_offset 1
		.amdhsa_system_sgpr_workgroup_id_x 1
		.amdhsa_system_sgpr_workgroup_id_y 0
		.amdhsa_system_sgpr_workgroup_id_z 0
		.amdhsa_system_sgpr_workgroup_info 0
		.amdhsa_system_vgpr_workitem_id 0
		.amdhsa_next_free_vgpr 256
		.amdhsa_next_free_sgpr 44
		.amdhsa_reserve_vcc 1
		.amdhsa_reserve_flat_scratch 0
		.amdhsa_float_round_mode_32 0
		.amdhsa_float_round_mode_16_64 0
		.amdhsa_float_denorm_mode_32 3
		.amdhsa_float_denorm_mode_16_64 3
		.amdhsa_dx10_clamp 1
		.amdhsa_ieee_mode 1
		.amdhsa_fp16_overflow 0
		.amdhsa_exception_fp_ieee_invalid_op 0
		.amdhsa_exception_fp_denorm_src 0
		.amdhsa_exception_fp_ieee_div_zero 0
		.amdhsa_exception_fp_ieee_overflow 0
		.amdhsa_exception_fp_ieee_underflow 0
		.amdhsa_exception_fp_ieee_inexact 0
		.amdhsa_exception_int_div_zero 0
	.end_amdhsa_kernel
	.text
.Lfunc_end0:
	.size	bluestein_single_back_len714_dim1_half_op_CI_CI, .Lfunc_end0-bluestein_single_back_len714_dim1_half_op_CI_CI
                                        ; -- End function
	.section	.AMDGPU.csdata,"",@progbits
; Kernel info:
; codeLenInByte = 28308
; NumSgprs: 48
; NumVgprs: 256
; ScratchSize: 104
; MemoryBound: 0
; FloatMode: 240
; IeeeMode: 1
; LDSByteSize: 2856 bytes/workgroup (compile time only)
; SGPRBlocks: 5
; VGPRBlocks: 63
; NumSGPRsForWavesPerEU: 48
; NumVGPRsForWavesPerEU: 256
; Occupancy: 1
; WaveLimiterHint : 1
; COMPUTE_PGM_RSRC2:SCRATCH_EN: 1
; COMPUTE_PGM_RSRC2:USER_SGPR: 6
; COMPUTE_PGM_RSRC2:TRAP_HANDLER: 0
; COMPUTE_PGM_RSRC2:TGID_X_EN: 1
; COMPUTE_PGM_RSRC2:TGID_Y_EN: 0
; COMPUTE_PGM_RSRC2:TGID_Z_EN: 0
; COMPUTE_PGM_RSRC2:TIDIG_COMP_CNT: 0
	.type	__hip_cuid_4948ea9881c6c33c,@object ; @__hip_cuid_4948ea9881c6c33c
	.section	.bss,"aw",@nobits
	.globl	__hip_cuid_4948ea9881c6c33c
__hip_cuid_4948ea9881c6c33c:
	.byte	0                               ; 0x0
	.size	__hip_cuid_4948ea9881c6c33c, 1

	.ident	"AMD clang version 19.0.0git (https://github.com/RadeonOpenCompute/llvm-project roc-6.4.0 25133 c7fe45cf4b819c5991fe208aaa96edf142730f1d)"
	.section	".note.GNU-stack","",@progbits
	.addrsig
	.addrsig_sym __hip_cuid_4948ea9881c6c33c
	.amdgpu_metadata
---
amdhsa.kernels:
  - .args:
      - .actual_access:  read_only
        .address_space:  global
        .offset:         0
        .size:           8
        .value_kind:     global_buffer
      - .actual_access:  read_only
        .address_space:  global
        .offset:         8
        .size:           8
        .value_kind:     global_buffer
      - .actual_access:  read_only
        .address_space:  global
        .offset:         16
        .size:           8
        .value_kind:     global_buffer
      - .actual_access:  read_only
        .address_space:  global
        .offset:         24
        .size:           8
        .value_kind:     global_buffer
      - .actual_access:  read_only
        .address_space:  global
        .offset:         32
        .size:           8
        .value_kind:     global_buffer
      - .offset:         40
        .size:           8
        .value_kind:     by_value
      - .address_space:  global
        .offset:         48
        .size:           8
        .value_kind:     global_buffer
      - .address_space:  global
        .offset:         56
        .size:           8
        .value_kind:     global_buffer
      - .address_space:  global
        .offset:         64
        .size:           8
        .value_kind:     global_buffer
      - .address_space:  global
        .offset:         72
        .size:           8
        .value_kind:     global_buffer
      - .offset:         80
        .size:           4
        .value_kind:     by_value
      - .address_space:  global
        .offset:         88
        .size:           8
        .value_kind:     global_buffer
      - .address_space:  global
        .offset:         96
        .size:           8
        .value_kind:     global_buffer
    .group_segment_fixed_size: 2856
    .kernarg_segment_align: 8
    .kernarg_segment_size: 104
    .language:       OpenCL C
    .language_version:
      - 2
      - 0
    .max_flat_workgroup_size: 51
    .name:           bluestein_single_back_len714_dim1_half_op_CI_CI
    .private_segment_fixed_size: 104
    .sgpr_count:     48
    .sgpr_spill_count: 0
    .symbol:         bluestein_single_back_len714_dim1_half_op_CI_CI.kd
    .uniform_work_group_size: 1
    .uses_dynamic_stack: false
    .vgpr_count:     256
    .vgpr_spill_count: 25
    .wavefront_size: 64
amdhsa.target:   amdgcn-amd-amdhsa--gfx906
amdhsa.version:
  - 1
  - 2
...

	.end_amdgpu_metadata
